;; amdgpu-corpus repo=ROCm/rocFFT kind=compiled arch=gfx906 opt=O3
	.text
	.amdgcn_target "amdgcn-amd-amdhsa--gfx906"
	.amdhsa_code_object_version 6
	.protected	bluestein_single_back_len1820_dim1_sp_op_CI_CI ; -- Begin function bluestein_single_back_len1820_dim1_sp_op_CI_CI
	.globl	bluestein_single_back_len1820_dim1_sp_op_CI_CI
	.p2align	8
	.type	bluestein_single_back_len1820_dim1_sp_op_CI_CI,@function
bluestein_single_back_len1820_dim1_sp_op_CI_CI: ; @bluestein_single_back_len1820_dim1_sp_op_CI_CI
; %bb.0:
	s_load_dwordx4 s[8:11], s[4:5], 0x28
	v_mul_u32_u24_e32 v1, 0x169, v0
	v_add_u32_sdwa v76, s6, v1 dst_sel:DWORD dst_unused:UNUSED_PAD src0_sel:DWORD src1_sel:WORD_1
	v_mov_b32_e32 v77, 0
	s_waitcnt lgkmcnt(0)
	v_cmp_gt_u64_e32 vcc, s[8:9], v[76:77]
	s_and_saveexec_b64 s[0:1], vcc
	s_cbranch_execz .LBB0_18
; %bb.1:
	s_load_dwordx4 s[0:3], s[4:5], 0x18
	s_load_dwordx4 s[12:15], s[4:5], 0x0
	s_movk_i32 s8, 0x1000
                                        ; implicit-def: $vgpr44
                                        ; implicit-def: $vgpr48
	s_waitcnt lgkmcnt(0)
	s_load_dwordx4 s[16:19], s[0:1], 0x0
	s_movk_i32 s0, 0xb6
	v_mul_lo_u16_sdwa v1, v1, s0 dst_sel:DWORD dst_unused:UNUSED_PAD src0_sel:WORD_1 src1_sel:DWORD
	v_sub_u16_e32 v107, v0, v1
	v_lshlrev_b32_e32 v108, 3, v107
	s_waitcnt lgkmcnt(0)
	v_mad_u64_u32 v[0:1], s[0:1], s18, v76, 0
	v_mad_u64_u32 v[2:3], s[0:1], s16, v107, 0
	s_mul_i32 s6, s17, 0x5b0
	s_mul_hi_u32 s7, s16, 0x5b0
	v_mad_u64_u32 v[4:5], s[0:1], s19, v76, v[1:2]
	s_add_i32 s6, s7, s6
	s_mul_i32 s7, s16, 0x5b0
	v_mad_u64_u32 v[5:6], s[0:1], s17, v107, v[3:4]
	v_mov_b32_e32 v1, v4
	v_lshlrev_b64 v[0:1], 3, v[0:1]
	v_mov_b32_e32 v6, s11
	v_mov_b32_e32 v3, v5
	v_add_co_u32_e32 v4, vcc, s10, v0
	v_addc_co_u32_e32 v5, vcc, v6, v1, vcc
	v_lshlrev_b64 v[0:1], 3, v[2:3]
	v_mov_b32_e32 v2, s13
	v_add_co_u32_e32 v0, vcc, v4, v0
	v_add_co_u32_e64 v111, s[0:1], s12, v108
	v_addc_co_u32_e32 v1, vcc, v5, v1, vcc
	v_addc_co_u32_e64 v22, vcc, 0, v2, s[0:1]
	v_mov_b32_e32 v3, s6
	v_add_co_u32_e32 v2, vcc, s7, v0
	v_addc_co_u32_e32 v3, vcc, v1, v3, vcc
	v_mov_b32_e32 v5, s6
	v_add_co_u32_e32 v4, vcc, s7, v2
	v_addc_co_u32_e32 v5, vcc, v3, v5, vcc
	;; [unrolled: 3-line block ×3, first 2 shown]
	global_load_dwordx2 v[91:92], v108, s[12:13]
	global_load_dwordx2 v[87:88], v108, s[12:13] offset:1456
	global_load_dwordx2 v[81:82], v108, s[12:13] offset:2912
	global_load_dwordx2 v[8:9], v[0:1], off
	global_load_dwordx2 v[10:11], v[2:3], off
	;; [unrolled: 1-line block ×4, first 2 shown]
	v_add_co_u32_e32 v0, vcc, s8, v111
	v_addc_co_u32_e32 v1, vcc, 0, v22, vcc
	v_mov_b32_e32 v3, s6
	v_add_co_u32_e32 v2, vcc, s7, v6
	v_addc_co_u32_e32 v3, vcc, v7, v3, vcc
	global_load_dwordx2 v[4:5], v[2:3], off
	v_mov_b32_e32 v6, s6
	v_add_co_u32_e32 v2, vcc, s7, v2
	v_addc_co_u32_e32 v3, vcc, v3, v6, vcc
	global_load_dwordx2 v[6:7], v[2:3], off
	global_load_dwordx2 v[89:90], v[0:1], off offset:272
	global_load_dwordx2 v[83:84], v[0:1], off offset:1728
	;; [unrolled: 1-line block ×3, first 2 shown]
	v_mov_b32_e32 v1, s6
	v_add_co_u32_e32 v0, vcc, s7, v2
	v_addc_co_u32_e32 v1, vcc, v3, v1, vcc
	s_movk_i32 s8, 0x2000
	v_add_co_u32_e32 v16, vcc, s8, v111
	v_addc_co_u32_e32 v17, vcc, 0, v22, vcc
	global_load_dwordx2 v[2:3], v[0:1], off
	v_mov_b32_e32 v18, s6
	v_add_co_u32_e32 v0, vcc, s7, v0
	v_addc_co_u32_e32 v1, vcc, v1, v18, vcc
	global_load_dwordx2 v[18:19], v[0:1], off
	v_mov_b32_e32 v20, s6
	v_add_co_u32_e32 v0, vcc, s7, v0
	v_addc_co_u32_e32 v1, vcc, v1, v20, vcc
	global_load_dwordx2 v[20:21], v[0:1], off
	global_load_dwordx2 v[85:86], v[16:17], off offset:544
	global_load_dwordx2 v[79:80], v[16:17], off offset:2000
	;; [unrolled: 1-line block ×3, first 2 shown]
	v_mov_b32_e32 v16, s6
	v_add_co_u32_e32 v0, vcc, s7, v0
	v_addc_co_u32_e32 v1, vcc, v1, v16, vcc
	s_movk_i32 s6, 0x3000
	global_load_dwordx2 v[16:17], v[0:1], off
	v_add_co_u32_e32 v0, vcc, s6, v111
	v_addc_co_u32_e32 v1, vcc, 0, v22, vcc
	global_load_dwordx2 v[72:73], v[0:1], off offset:816
	s_load_dwordx4 s[8:11], s[2:3], 0x0
	s_load_dwordx2 s[6:7], s[4:5], 0x38
	s_mov_b32 s2, 0x3f737871
	s_mov_b32 s4, 0xbf737871
	;; [unrolled: 1-line block ×4, first 2 shown]
	s_waitcnt vmcnt(16)
	v_mul_f32_e32 v0, v9, v92
	v_mul_f32_e32 v1, v8, v92
	v_fmac_f32_e32 v0, v8, v91
	v_fma_f32 v1, v9, v91, -v1
	s_waitcnt vmcnt(15)
	v_mul_f32_e32 v8, v11, v88
	v_mul_f32_e32 v9, v10, v88
	v_fmac_f32_e32 v8, v10, v87
	v_fma_f32 v9, v11, v87, -v9
	ds_write2_b64 v108, v[0:1], v[8:9] offset1:182
	s_waitcnt vmcnt(14)
	v_mul_f32_e32 v0, v13, v82
	v_mul_f32_e32 v1, v12, v82
	v_fmac_f32_e32 v0, v12, v81
	v_fma_f32 v1, v13, v81, -v1
	v_add_u32_e32 v10, 0xa00, v108
	s_waitcnt vmcnt(10)
	v_mul_f32_e32 v8, v15, v90
	v_mul_f32_e32 v9, v14, v90
	v_fmac_f32_e32 v8, v14, v89
	v_fma_f32 v9, v15, v89, -v9
	ds_write2_b64 v10, v[0:1], v[8:9] offset0:44 offset1:226
	s_waitcnt vmcnt(9)
	v_mul_f32_e32 v0, v5, v84
	v_mul_f32_e32 v1, v4, v84
	v_fmac_f32_e32 v0, v4, v83
	v_fma_f32 v1, v5, v83, -v1
	s_waitcnt vmcnt(8)
	v_mul_f32_e32 v4, v7, v78
	v_mul_f32_e32 v5, v6, v78
	v_fmac_f32_e32 v4, v6, v77
	v_fma_f32 v5, v7, v77, -v5
	v_add_u32_e32 v9, 0x1600, v108
	ds_write2_b64 v9, v[0:1], v[4:5] offset0:24 offset1:206
	s_waitcnt vmcnt(4)
	v_mul_f32_e32 v1, v3, v86
	v_mul_f32_e32 v0, v2, v86
	v_fmac_f32_e32 v1, v2, v85
	v_fma_f32 v2, v3, v85, -v0
	s_waitcnt vmcnt(3)
	v_mul_f32_e32 v3, v19, v80
	v_mul_f32_e32 v0, v18, v80
	v_fmac_f32_e32 v3, v18, v79
	v_fma_f32 v4, v19, v79, -v0
	v_add_u32_e32 v0, 0x2000, v108
	;; [unrolled: 12-line block ×3, first 2 shown]
	ds_write2_b64 v17, v[1:2], v[3:4] offset0:48 offset1:230
	s_waitcnt lgkmcnt(0)
	s_barrier
	ds_read2_b64 v[1:4], v108 offset1:182
	ds_read2_b64 v[5:8], v10 offset0:44 offset1:226
	ds_read2_b64 v[9:12], v9 offset0:24 offset1:206
	;; [unrolled: 1-line block ×4, first 2 shown]
	s_waitcnt lgkmcnt(0)
	v_add_f32_e32 v21, v1, v5
	v_sub_f32_e32 v25, v5, v9
	v_add_f32_e32 v22, v9, v13
	v_fma_f32 v22, -0.5, v22, v1
	v_sub_f32_e32 v23, v6, v18
	v_mov_b32_e32 v35, v22
	v_fmac_f32_e32 v35, 0x3f737871, v23
	v_sub_f32_e32 v24, v10, v14
	v_sub_f32_e32 v26, v17, v13
	v_fmac_f32_e32 v22, 0xbf737871, v23
	v_fmac_f32_e32 v35, 0x3f167918, v24
	v_add_f32_e32 v25, v25, v26
	v_fmac_f32_e32 v22, 0xbf167918, v24
	v_fmac_f32_e32 v35, 0x3e9e377a, v25
	;; [unrolled: 1-line block ×3, first 2 shown]
	v_add_f32_e32 v25, v5, v17
	v_fma_f32 v1, -0.5, v25, v1
	v_mov_b32_e32 v37, v1
	v_add_f32_e32 v21, v21, v9
	v_fmac_f32_e32 v37, 0xbf737871, v24
	v_fmac_f32_e32 v1, 0x3f737871, v24
	v_add_f32_e32 v24, v10, v14
	v_add_f32_e32 v21, v21, v13
	v_fma_f32 v43, -0.5, v24, v2
	v_add_f32_e32 v21, v21, v17
	v_sub_f32_e32 v25, v9, v5
	v_sub_f32_e32 v26, v13, v17
	;; [unrolled: 1-line block ×3, first 2 shown]
	v_mov_b32_e32 v17, v43
	v_fmac_f32_e32 v17, 0xbf737871, v5
	v_sub_f32_e32 v9, v9, v13
	v_sub_f32_e32 v13, v6, v10
	;; [unrolled: 1-line block ×3, first 2 shown]
	v_fmac_f32_e32 v43, 0x3f737871, v5
	v_fmac_f32_e32 v17, 0xbf167918, v9
	v_add_f32_e32 v13, v13, v24
	v_fmac_f32_e32 v43, 0x3f167918, v9
	v_fmac_f32_e32 v17, 0x3e9e377a, v13
	;; [unrolled: 1-line block ×3, first 2 shown]
	v_add_f32_e32 v13, v6, v18
	v_fmac_f32_e32 v37, 0x3f167918, v23
	v_fmac_f32_e32 v1, 0xbf167918, v23
	v_add_f32_e32 v23, v2, v6
	v_fma_f32 v2, -0.5, v13, v2
	v_mov_b32_e32 v13, v2
	v_add_f32_e32 v23, v23, v10
	v_fmac_f32_e32 v13, 0x3f737871, v9
	v_sub_f32_e32 v6, v10, v6
	v_sub_f32_e32 v10, v14, v18
	v_fmac_f32_e32 v2, 0xbf737871, v9
	v_fmac_f32_e32 v13, 0xbf167918, v5
	v_add_f32_e32 v6, v6, v10
	v_fmac_f32_e32 v2, 0x3f167918, v5
	v_fmac_f32_e32 v13, 0x3e9e377a, v6
	;; [unrolled: 1-line block ×3, first 2 shown]
	v_add_f32_e32 v6, v11, v15
	v_fma_f32 v6, -0.5, v6, v3
	v_add_f32_e32 v23, v23, v14
	v_sub_f32_e32 v9, v8, v20
	v_mov_b32_e32 v10, v6
	v_add_f32_e32 v23, v23, v18
	v_fmac_f32_e32 v10, 0x3f737871, v9
	v_sub_f32_e32 v14, v12, v16
	v_sub_f32_e32 v18, v7, v11
	;; [unrolled: 1-line block ×3, first 2 shown]
	v_fmac_f32_e32 v6, 0xbf737871, v9
	v_fmac_f32_e32 v10, 0x3f167918, v14
	v_add_f32_e32 v18, v18, v24
	v_fmac_f32_e32 v6, 0xbf167918, v14
	v_fmac_f32_e32 v10, 0x3e9e377a, v18
	;; [unrolled: 1-line block ×3, first 2 shown]
	v_add_f32_e32 v18, v7, v19
	v_add_f32_e32 v5, v3, v7
	v_fma_f32 v3, -0.5, v18, v3
	v_mov_b32_e32 v18, v3
	v_add_f32_e32 v25, v25, v26
	v_add_f32_e32 v5, v5, v11
	v_fmac_f32_e32 v18, 0xbf737871, v14
	v_fmac_f32_e32 v3, 0x3f737871, v14
	v_add_f32_e32 v14, v12, v16
	v_fmac_f32_e32 v37, 0x3e9e377a, v25
	v_fmac_f32_e32 v1, 0x3e9e377a, v25
	v_add_f32_e32 v5, v5, v15
	v_sub_f32_e32 v24, v11, v7
	v_sub_f32_e32 v25, v15, v19
	v_fma_f32 v14, -0.5, v14, v4
	v_add_f32_e32 v5, v5, v19
	v_fmac_f32_e32 v18, 0x3f167918, v9
	v_add_f32_e32 v24, v24, v25
	v_fmac_f32_e32 v3, 0xbf167918, v9
	v_sub_f32_e32 v7, v7, v19
	v_mov_b32_e32 v19, v14
	v_fmac_f32_e32 v18, 0x3e9e377a, v24
	v_fmac_f32_e32 v3, 0x3e9e377a, v24
	v_fmac_f32_e32 v19, 0xbf737871, v7
	v_sub_f32_e32 v11, v11, v15
	v_sub_f32_e32 v15, v8, v12
	;; [unrolled: 1-line block ×3, first 2 shown]
	v_fmac_f32_e32 v14, 0x3f737871, v7
	v_fmac_f32_e32 v19, 0xbf167918, v11
	v_add_f32_e32 v15, v15, v24
	v_fmac_f32_e32 v14, 0x3f167918, v11
	v_fmac_f32_e32 v19, 0x3e9e377a, v15
	;; [unrolled: 1-line block ×3, first 2 shown]
	v_add_f32_e32 v15, v8, v20
	v_add_f32_e32 v9, v4, v8
	v_fmac_f32_e32 v4, -0.5, v15
	v_add_f32_e32 v9, v9, v12
	v_mov_b32_e32 v15, v4
	v_sub_f32_e32 v8, v12, v8
	v_sub_f32_e32 v12, v16, v20
	v_fmac_f32_e32 v4, 0xbf737871, v11
	v_fmac_f32_e32 v15, 0x3f737871, v11
	v_add_f32_e32 v8, v8, v12
	v_fmac_f32_e32 v4, 0x3f167918, v7
	v_fmac_f32_e32 v15, 0xbf167918, v7
	;; [unrolled: 1-line block ×3, first 2 shown]
	v_mul_f32_e32 v11, 0x3e9e377a, v3
	v_fmac_f32_e32 v15, 0x3e9e377a, v8
	v_fma_f32 v11, v4, s2, -v11
	v_mul_f32_e32 v4, 0x3e9e377a, v4
	v_add_f32_e32 v9, v9, v16
	v_mul_f32_e32 v7, 0x3f4f1bbd, v10
	v_mul_f32_e32 v8, 0x3f737871, v15
	;; [unrolled: 1-line block ×5, first 2 shown]
	v_fma_f32 v3, v3, s4, -v4
	v_mul_f32_e32 v4, 0x3f4f1bbd, v14
	v_add_f32_e32 v9, v9, v20
	v_fmac_f32_e32 v7, 0x3f167918, v19
	v_fmac_f32_e32 v8, 0x3e9e377a, v18
	v_add_f32_e32 v30, v1, v11
	v_fma_f32 v12, v14, s3, -v12
	v_fmac_f32_e32 v10, 0x3f4f1bbd, v19
	v_fmac_f32_e32 v16, 0x3e9e377a, v15
	v_fma_f32 v4, v6, s5, -v4
	v_sub_f32_e32 v40, v1, v11
	v_mul_lo_u16_e32 v1, 10, v107
	s_movk_i32 s2, 0x8c
	v_add_f32_e32 v24, v21, v5
	v_add_f32_e32 v26, v35, v7
	;; [unrolled: 1-line block ×9, first 2 shown]
	v_sub_f32_e32 v34, v21, v5
	v_sub_f32_e32 v36, v35, v7
	;; [unrolled: 1-line block ×9, first 2 shown]
	v_lshlrev_b32_e32 v112, 3, v1
	v_cmp_gt_u16_e32 vcc, s2, v107
	s_barrier
	ds_write_b128 v112, v[24:27]
	ds_write_b128 v112, v[28:31] offset:16
	ds_write_b128 v112, v[32:35] offset:32
	;; [unrolled: 1-line block ×4, first 2 shown]
	s_waitcnt lgkmcnt(0)
	s_barrier
	s_and_saveexec_b64 s[2:3], vcc
	s_cbranch_execz .LBB0_3
; %bb.2:
	v_add_u32_e32 v1, 0x800, v108
	ds_read2_b64 v[28:31], v1 offset0:24 offset1:164
	v_add_u32_e32 v1, 0x1000, v108
	ds_read2_b64 v[32:35], v1 offset0:48 offset1:188
	v_add_u32_e32 v1, 0x1800, v108
	ds_read2_b64 v[24:27], v108 offset1:140
	ds_read2_b64 v[36:39], v1 offset0:72 offset1:212
	ds_read2_b64 v[40:43], v0 offset0:96 offset1:236
	v_add_u32_e32 v0, 0x2a00, v108
	ds_read2_b64 v[44:47], v0 offset0:56 offset1:196
	ds_read_b64 v[48:49], v108 offset:13440
.LBB0_3:
	s_or_b64 exec, exec, s[2:3]
	s_movk_i32 s2, 0xcd
	v_mul_lo_u16_sdwa v0, v107, s2 dst_sel:DWORD dst_unused:UNUSED_PAD src0_sel:BYTE_0 src1_sel:DWORD
	v_lshrrev_b16_e32 v109, 11, v0
	v_mul_lo_u16_e32 v0, 10, v109
	v_sub_u16_e32 v0, v107, v0
	v_and_b32_e32 v110, 0xff, v0
	v_mul_u32_u24_e32 v0, 12, v110
	v_lshlrev_b32_e32 v50, 3, v0
	global_load_dwordx4 v[16:19], v50, s[14:15]
	global_load_dwordx4 v[8:11], v50, s[14:15] offset:16
	global_load_dwordx4 v[4:7], v50, s[14:15] offset:32
	;; [unrolled: 1-line block ×5, first 2 shown]
	s_mov_b32 s4, 0x3f62ad3f
	s_mov_b32 s3, 0x3f116cb1
	;; [unrolled: 1-line block ×6, first 2 shown]
	s_waitcnt vmcnt(0) lgkmcnt(0)
	s_barrier
	v_mul_f32_e32 v60, v26, v17
	v_mul_f32_e32 v61, v28, v19
	;; [unrolled: 1-line block ×3, first 2 shown]
	v_fmac_f32_e32 v60, v27, v16
	v_mul_f32_e32 v50, v27, v17
	v_mul_f32_e32 v71, v48, v15
	;; [unrolled: 1-line block ×3, first 2 shown]
	v_fmac_f32_e32 v71, v49, v14
	v_mul_f32_e32 v51, v29, v19
	v_mul_f32_e32 v62, v30, v9
	;; [unrolled: 1-line block ×6, first 2 shown]
	v_fmac_f32_e32 v61, v29, v18
	v_fma_f32 v29, v32, v10, -v53
	v_fmac_f32_e32 v70, v47, v12
	v_sub_f32_e32 v53, v60, v71
	v_mul_f32_e32 v52, v31, v9
	v_mul_f32_e32 v63, v32, v11
	;; [unrolled: 1-line block ×7, first 2 shown]
	v_fma_f32 v26, v26, v16, -v50
	v_fmac_f32_e32 v62, v31, v8
	v_fmac_f32_e32 v65, v37, v6
	v_fma_f32 v32, v38, v0, -v56
	v_fmac_f32_e32 v69, v45, v22
	v_fma_f32 v37, v48, v14, -v94
	v_sub_f32_e32 v162, v61, v70
	v_mul_f32_e32 v38, 0xbeedf032, v53
	v_mul_f32_e32 v54, v35, v5
	;; [unrolled: 1-line block ×4, first 2 shown]
	v_fma_f32 v27, v28, v18, -v51
	v_fma_f32 v28, v30, v8, -v52
	v_fmac_f32_e32 v64, v35, v4
	v_fma_f32 v31, v36, v6, -v55
	v_fmac_f32_e32 v66, v39, v0
	v_fma_f32 v35, v44, v22, -v59
	v_fma_f32 v36, v46, v12, -v93
	v_add_f32_e32 v47, v26, v37
	v_sub_f32_e32 v52, v26, v37
	v_sub_f32_e32 v166, v62, v69
	v_mul_f32_e32 v39, 0xbf52af12, v162
	v_mov_b32_e32 v44, v38
	v_mul_f32_e32 v58, v43, v21
	v_fmac_f32_e32 v63, v33, v10
	v_fma_f32 v33, v40, v2, -v57
	v_fmac_f32_e32 v67, v41, v2
	v_add_f32_e32 v93, v60, v71
	v_add_f32_e32 v95, v27, v36
	v_sub_f32_e32 v163, v27, v36
	v_mul_f32_e32 v41, 0xbeedf032, v52
	v_mul_f32_e32 v40, 0xbf7e222b, v166
	v_mov_b32_e32 v46, v39
	v_fmac_f32_e32 v44, 0x3f62ad3f, v47
	v_mul_f32_e32 v68, v42, v21
	v_fma_f32 v30, v34, v4, -v54
	v_fma_f32 v34, v42, v20, -v58
	v_add_f32_e32 v96, v61, v70
	v_add_f32_e32 v98, v28, v35
	v_sub_f32_e32 v164, v28, v35
	v_mul_f32_e32 v42, 0xbf52af12, v163
	v_fma_f32 v45, v93, s4, -v41
	v_mov_b32_e32 v49, v40
	v_fmac_f32_e32 v46, 0x3f116cb1, v95
	v_add_f32_e32 v44, v24, v44
	v_fmac_f32_e32 v68, v43, v20
	v_add_f32_e32 v99, v62, v69
	v_mul_f32_e32 v43, 0xbf7e222b, v164
	v_fma_f32 v48, v96, s3, -v42
	v_add_f32_e32 v45, v25, v45
	v_fmac_f32_e32 v49, 0x3df6dbef, v98
	v_add_f32_e32 v44, v46, v44
	v_add_f32_e32 v45, v48, v45
	;; [unrolled: 1-line block ×3, first 2 shown]
	v_fma_f32 v44, v99, s2, -v43
	v_sub_f32_e32 v168, v63, v68
	v_add_f32_e32 v48, v44, v45
	v_mul_f32_e32 v44, 0xbf6f5d39, v168
	v_add_f32_e32 v114, v29, v34
	v_mov_b32_e32 v45, v44
	v_fmac_f32_e32 v45, 0xbeb58ec6, v114
	v_sub_f32_e32 v170, v29, v34
	v_add_f32_e32 v115, v63, v68
	v_add_f32_e32 v49, v45, v46
	v_mul_f32_e32 v45, 0xbf6f5d39, v170
	v_fma_f32 v46, v115, s5, -v45
	v_sub_f32_e32 v171, v64, v67
	v_add_f32_e32 v48, v46, v48
	v_mul_f32_e32 v46, 0xbf29c268, v171
	v_add_f32_e32 v121, v30, v33
	v_mov_b32_e32 v50, v46
	v_sub_f32_e32 v172, v30, v33
	v_fmac_f32_e32 v50, 0xbf3f9e67, v121
	v_add_f32_e32 v122, v64, v67
	v_mul_f32_e32 v94, 0xbf29c268, v172
	v_sub_f32_e32 v173, v65, v66
	v_add_f32_e32 v49, v50, v49
	v_fma_f32 v50, v122, s12, -v94
	v_mul_f32_e32 v97, 0xbe750f2a, v173
	v_add_f32_e32 v50, v50, v48
	v_add_f32_e32 v132, v31, v32
	v_mov_b32_e32 v48, v97
	v_sub_f32_e32 v174, v31, v32
	v_fmac_f32_e32 v48, 0xbf788fa5, v132
	v_add_f32_e32 v135, v65, v66
	v_mul_f32_e32 v100, 0xbe750f2a, v174
	v_add_f32_e32 v48, v48, v49
	v_fma_f32 v49, v135, s16, -v100
	v_mul_f32_e32 v101, 0xbf52af12, v53
	v_add_f32_e32 v49, v49, v50
	v_mov_b32_e32 v50, v101
	v_mul_f32_e32 v102, 0xbf6f5d39, v162
	v_fmac_f32_e32 v50, 0x3f116cb1, v47
	v_mov_b32_e32 v51, v102
	v_add_f32_e32 v50, v24, v50
	v_fmac_f32_e32 v51, 0xbeb58ec6, v95
	v_mul_f32_e32 v105, 0xbf52af12, v52
	v_add_f32_e32 v50, v51, v50
	v_fma_f32 v51, v93, s3, -v105
	v_mul_f32_e32 v113, 0xbf6f5d39, v163
	v_add_f32_e32 v51, v25, v51
	v_fma_f32 v54, v96, s5, -v113
	v_mul_f32_e32 v103, 0xbe750f2a, v166
	v_add_f32_e32 v51, v54, v51
	v_mov_b32_e32 v54, v103
	v_fmac_f32_e32 v54, 0xbf788fa5, v98
	v_mul_f32_e32 v117, 0xbe750f2a, v164
	v_add_f32_e32 v50, v54, v50
	v_fma_f32 v54, v99, s16, -v117
	v_mul_f32_e32 v104, 0x3f29c268, v168
	v_add_f32_e32 v51, v54, v51
	v_mov_b32_e32 v54, v104
	v_fmac_f32_e32 v54, 0xbf3f9e67, v114
	v_mul_f32_e32 v118, 0x3f29c268, v170
	v_add_f32_e32 v50, v54, v50
	v_fma_f32 v54, v115, s12, -v118
	v_mul_f32_e32 v106, 0x3f7e222b, v171
	v_add_f32_e32 v51, v54, v51
	v_mov_b32_e32 v54, v106
	v_fmac_f32_e32 v54, 0x3df6dbef, v121
	v_mul_f32_e32 v119, 0x3f7e222b, v172
	v_add_f32_e32 v50, v54, v50
	v_fma_f32 v54, v122, s2, -v119
	v_mul_f32_e32 v116, 0x3eedf032, v173
	v_add_f32_e32 v51, v54, v51
	v_mov_b32_e32 v54, v116
	v_fmac_f32_e32 v54, 0x3f62ad3f, v132
	v_mul_f32_e32 v120, 0x3eedf032, v174
	v_add_f32_e32 v50, v54, v50
	v_fma_f32 v54, v135, s4, -v120
	v_mul_f32_e32 v123, 0xbf7e222b, v53
	v_add_f32_e32 v51, v54, v51
	v_mov_b32_e32 v54, v123
	v_mul_f32_e32 v124, 0xbe750f2a, v162
	v_fmac_f32_e32 v54, 0x3df6dbef, v47
	v_mov_b32_e32 v55, v124
	v_add_f32_e32 v54, v24, v54
	v_fmac_f32_e32 v55, 0xbf788fa5, v95
	v_mul_f32_e32 v127, 0xbf7e222b, v52
	v_add_f32_e32 v54, v55, v54
	v_fma_f32 v55, v93, s2, -v127
	v_mul_f32_e32 v129, 0xbe750f2a, v163
	v_add_f32_e32 v55, v25, v55
	v_fma_f32 v56, v96, s16, -v129
	v_mul_f32_e32 v125, 0x3f6f5d39, v166
	v_add_f32_e32 v55, v56, v55
	v_mov_b32_e32 v56, v125
	v_fmac_f32_e32 v56, 0xbeb58ec6, v98
	v_mul_f32_e32 v131, 0x3f6f5d39, v164
	v_add_f32_e32 v54, v56, v54
	v_fma_f32 v56, v99, s5, -v131
	v_mul_f32_e32 v126, 0x3eedf032, v168
	v_add_f32_e32 v55, v56, v55
	v_mov_b32_e32 v56, v126
	v_fmac_f32_e32 v56, 0x3f62ad3f, v114
	v_mul_f32_e32 v133, 0x3eedf032, v170
	v_add_f32_e32 v54, v56, v54
	v_fma_f32 v56, v115, s4, -v133
	v_mul_f32_e32 v128, 0xbf52af12, v171
	v_add_f32_e32 v55, v56, v55
	v_mov_b32_e32 v56, v128
	v_fmac_f32_e32 v56, 0x3f116cb1, v121
	v_mul_f32_e32 v134, 0xbf52af12, v172
	v_add_f32_e32 v54, v56, v54
	v_fma_f32 v56, v122, s3, -v134
	v_mul_f32_e32 v130, 0xbf29c268, v173
	v_add_f32_e32 v55, v56, v55
	v_mov_b32_e32 v56, v130
	v_fmac_f32_e32 v56, 0xbf3f9e67, v132
	;; [unrolled: 42-line block ×3, first 2 shown]
	v_mul_f32_e32 v148, 0x3f52af12, v174
	v_add_f32_e32 v56, v58, v56
	v_fma_f32 v58, v135, s3, -v148
	v_mul_f32_e32 v149, 0xbf29c268, v53
	v_add_f32_e32 v57, v58, v57
	v_mov_b32_e32 v58, v149
	v_mul_f32_e32 v150, 0x3f7e222b, v162
	v_fmac_f32_e32 v58, 0xbf3f9e67, v47
	v_mov_b32_e32 v59, v150
	v_add_f32_e32 v58, v24, v58
	v_fmac_f32_e32 v59, 0x3df6dbef, v95
	v_mul_f32_e32 v153, 0xbf29c268, v52
	v_add_f32_e32 v58, v59, v58
	v_fma_f32 v59, v93, s12, -v153
	v_mul_f32_e32 v155, 0x3f7e222b, v163
	v_add_f32_e32 v59, v25, v59
	v_fma_f32 v151, v96, s2, -v155
	v_add_f32_e32 v59, v151, v59
	v_mul_f32_e32 v151, 0xbf52af12, v166
	v_mov_b32_e32 v152, v151
	v_fmac_f32_e32 v152, 0x3f116cb1, v98
	v_mul_f32_e32 v157, 0xbf52af12, v164
	v_add_f32_e32 v58, v152, v58
	v_fma_f32 v152, v99, s3, -v157
	v_add_f32_e32 v59, v152, v59
	v_mul_f32_e32 v152, 0x3e750f2a, v168
	v_mov_b32_e32 v154, v152
	v_fmac_f32_e32 v154, 0xbf788fa5, v114
	;; [unrolled: 7-line block ×4, first 2 shown]
	v_add_f32_e32 v58, v160, v58
	v_mul_f32_e32 v160, 0xbf6f5d39, v174
	v_fma_f32 v161, v135, s5, -v160
	v_add_f32_e32 v59, v161, v59
	v_mul_f32_e32 v161, 0xbe750f2a, v53
	v_mov_b32_e32 v53, v161
	v_mul_f32_e32 v162, 0x3eedf032, v162
	v_fmac_f32_e32 v53, 0xbf788fa5, v47
	v_mov_b32_e32 v165, v162
	v_add_f32_e32 v53, v24, v53
	v_fmac_f32_e32 v165, 0x3f62ad3f, v95
	v_add_f32_e32 v53, v165, v53
	v_mul_f32_e32 v165, 0xbe750f2a, v52
	v_fma_f32 v52, v93, s16, -v165
	v_mul_f32_e32 v167, 0x3eedf032, v163
	v_add_f32_e32 v52, v25, v52
	v_fma_f32 v163, v96, s4, -v167
	v_add_f32_e32 v52, v163, v52
	v_mul_f32_e32 v163, 0xbf29c268, v166
	v_mul_f32_e32 v169, 0xbf29c268, v164
	v_mov_b32_e32 v166, v163
	v_fma_f32 v164, v99, s12, -v169
	v_fmac_f32_e32 v166, 0xbf3f9e67, v98
	v_add_f32_e32 v52, v164, v52
	v_mul_f32_e32 v164, 0x3f52af12, v168
	v_add_f32_e32 v53, v166, v53
	v_mov_b32_e32 v166, v164
	v_fmac_f32_e32 v166, 0x3f116cb1, v114
	v_mul_f32_e32 v170, 0x3f52af12, v170
	v_add_f32_e32 v53, v166, v53
	v_fma_f32 v166, v115, s3, -v170
	v_add_f32_e32 v52, v166, v52
	v_mul_f32_e32 v166, 0xbf6f5d39, v171
	v_mov_b32_e32 v168, v166
	v_fmac_f32_e32 v168, 0xbeb58ec6, v121
	v_mul_f32_e32 v171, 0xbf6f5d39, v172
	v_add_f32_e32 v53, v168, v53
	v_fma_f32 v168, v122, s5, -v171
	v_add_f32_e32 v175, v168, v52
	v_mul_f32_e32 v168, 0x3f7e222b, v173
	v_mov_b32_e32 v52, v168
	v_mul_f32_e32 v172, 0x3f7e222b, v174
	v_fmac_f32_e32 v52, 0x3df6dbef, v132
	v_add_f32_e32 v52, v52, v53
	v_fma_f32 v53, v135, s2, -v172
	v_add_f32_e32 v53, v53, v175
	s_and_saveexec_b64 s[2:3], vcc
	s_cbranch_execz .LBB0_5
; %bb.4:
	v_mul_f32_e32 v174, 0x3f62ad3f, v93
	v_mul_f32_e32 v176, 0x3f116cb1, v93
	;; [unrolled: 1-line block ×12, first 2 shown]
	v_add_f32_e32 v93, v165, v93
	v_mul_f32_e32 v194, 0x3df6dbef, v99
	v_mul_f32_e32 v196, 0xbf788fa5, v99
	v_mul_f32_e32 v198, 0xbeb58ec6, v99
	v_mul_f32_e32 v200, 0x3f62ad3f, v99
	v_mul_f32_e32 v202, 0x3f116cb1, v99
	v_mul_f32_e32 v99, 0xbf3f9e67, v99
	v_add_f32_e32 v93, v25, v93
	v_add_f32_e32 v96, v167, v96
	v_mul_f32_e32 v204, 0xbeb58ec6, v115
	v_mul_f32_e32 v206, 0xbf3f9e67, v115
	v_mul_f32_e32 v208, 0x3f62ad3f, v115
	v_mul_f32_e32 v210, 0x3df6dbef, v115
	v_mul_f32_e32 v212, 0xbf788fa5, v115
	v_mul_f32_e32 v115, 0x3f116cb1, v115
	v_add_f32_e32 v93, v96, v93
	;; [unrolled: 8-line block ×3, first 2 shown]
	v_add_f32_e32 v96, v170, v115
	v_mul_f32_e32 v173, 0x3f62ad3f, v47
	v_mul_f32_e32 v175, 0x3f116cb1, v47
	;; [unrolled: 1-line block ×12, first 2 shown]
	v_add_f32_e32 v93, v96, v93
	v_add_f32_e32 v96, v171, v122
	v_mul_f32_e32 v183, 0x3f116cb1, v95
	v_mul_f32_e32 v185, 0xbeb58ec6, v95
	;; [unrolled: 1-line block ×6, first 2 shown]
	v_add_f32_e32 v93, v96, v93
	v_add_f32_e32 v96, v172, v135
	v_sub_f32_e32 v47, v47, v161
	v_mul_f32_e32 v193, 0x3df6dbef, v98
	v_mul_f32_e32 v195, 0xbf788fa5, v98
	;; [unrolled: 1-line block ×6, first 2 shown]
	v_add_f32_e32 v96, v96, v93
	v_add_f32_e32 v47, v24, v47
	v_sub_f32_e32 v93, v95, v162
	v_mul_f32_e32 v203, 0xbeb58ec6, v114
	v_mul_f32_e32 v205, 0xbf3f9e67, v114
	v_mul_f32_e32 v207, 0x3f62ad3f, v114
	v_mul_f32_e32 v209, 0x3df6dbef, v114
	v_mul_f32_e32 v211, 0xbf788fa5, v114
	v_mul_f32_e32 v114, 0x3f116cb1, v114
	v_add_f32_e32 v47, v93, v47
	v_sub_f32_e32 v93, v98, v163
	v_mul_f32_e32 v213, 0xbf3f9e67, v121
	v_mul_f32_e32 v215, 0x3df6dbef, v121
	v_mul_f32_e32 v217, 0x3f116cb1, v121
	v_mul_f32_e32 v219, 0xbf788fa5, v121
	v_mul_f32_e32 v221, 0x3f62ad3f, v121
	v_mul_f32_e32 v121, 0xbeb58ec6, v121
	;; [unrolled: 8-line block ×3, first 2 shown]
	v_add_f32_e32 v47, v93, v47
	v_sub_f32_e32 v93, v121, v166
	v_add_f32_e32 v47, v93, v47
	v_sub_f32_e32 v93, v132, v168
	v_add_f32_e32 v95, v93, v47
	v_add_f32_e32 v47, v153, v182
	v_add_f32_e32 v47, v25, v47
	v_add_f32_e32 v93, v155, v192
	v_add_f32_e32 v47, v93, v47
	v_add_f32_e32 v93, v157, v202
	v_add_f32_e32 v47, v93, v47
	v_add_f32_e32 v93, v158, v212
	v_add_f32_e32 v47, v93, v47
	v_add_f32_e32 v93, v159, v222
	v_add_f32_e32 v47, v93, v47
	v_add_f32_e32 v93, v160, v232
	v_add_f32_e32 v99, v93, v47
	v_sub_f32_e32 v47, v181, v149
	v_add_f32_e32 v47, v24, v47
	v_sub_f32_e32 v93, v191, v150
	v_add_f32_e32 v47, v93, v47
	v_sub_f32_e32 v93, v201, v151
	v_add_f32_e32 v47, v93, v47
	v_sub_f32_e32 v93, v211, v152
	v_add_f32_e32 v47, v93, v47
	v_sub_f32_e32 v93, v221, v154
	v_add_f32_e32 v47, v93, v47
	v_sub_f32_e32 v93, v231, v156
	v_add_f32_e32 v98, v93, v47
	v_add_f32_e32 v47, v141, v180
	v_add_f32_e32 v47, v25, v47
	v_add_f32_e32 v93, v143, v190
	v_add_f32_e32 v47, v93, v47
	v_add_f32_e32 v93, v145, v200
	v_add_f32_e32 v47, v93, v47
	v_add_f32_e32 v93, v146, v210
	v_add_f32_e32 v47, v93, v47
	v_add_f32_e32 v93, v147, v220
	v_add_f32_e32 v47, v93, v47
	v_add_f32_e32 v93, v148, v230
	v_add_f32_e32 v115, v93, v47
	v_sub_f32_e32 v47, v179, v137
	v_add_f32_e32 v47, v24, v47
	v_sub_f32_e32 v93, v189, v138
	v_add_f32_e32 v47, v93, v47
	v_sub_f32_e32 v93, v199, v139
	v_add_f32_e32 v47, v93, v47
	v_sub_f32_e32 v93, v209, v140
	;; [unrolled: 24-line block ×3, first 2 shown]
	v_add_f32_e32 v47, v93, v47
	v_sub_f32_e32 v93, v217, v128
	v_add_f32_e32 v47, v93, v47
	v_sub_f32_e32 v93, v227, v130
	v_add_f32_e32 v121, v93, v47
	v_add_f32_e32 v47, v105, v176
	;; [unrolled: 1-line block ×13, first 2 shown]
	v_sub_f32_e32 v47, v175, v101
	v_add_f32_e32 v41, v41, v174
	v_sub_f32_e32 v38, v173, v38
	v_add_f32_e32 v47, v24, v47
	v_add_f32_e32 v41, v25, v41
	;; [unrolled: 1-line block ×16, first 2 shown]
	v_sub_f32_e32 v39, v183, v39
	v_add_f32_e32 v25, v25, v66
	v_add_f32_e32 v24, v24, v32
	v_sub_f32_e32 v93, v185, v102
	v_add_f32_e32 v41, v42, v41
	v_add_f32_e32 v42, v43, v194
	v_add_f32_e32 v38, v39, v38
	v_sub_f32_e32 v39, v193, v40
	v_add_f32_e32 v25, v25, v67
	;; [unrolled: 4-line block ×8, first 2 shown]
	v_add_f32_e32 v24, v24, v36
	v_mul_u32_u24_e32 v26, 0x82, v109
	v_add_f32_e32 v47, v93, v47
	v_sub_f32_e32 v93, v225, v116
	v_add_f32_e32 v41, v42, v41
	v_add_f32_e32 v40, v39, v38
	;; [unrolled: 1-line block ×4, first 2 shown]
	v_add_lshl_u32 v26, v26, v110, 3
	v_add_f32_e32 v104, v93, v47
	ds_write2_b64 v26, v[24:25], v[40:41] offset1:10
	ds_write2_b64 v26, v[104:105], v[121:122] offset0:20 offset1:30
	ds_write2_b64 v26, v[114:115], v[98:99] offset0:40 offset1:50
	;; [unrolled: 1-line block ×5, first 2 shown]
	ds_write_b64 v26, v[48:49] offset:960
.LBB0_5:
	s_or_b64 exec, exec, s[2:3]
	s_waitcnt lgkmcnt(0)
	s_barrier
	ds_read_b64 v[60:61], v108
	ds_read_b64 v[95:96], v108 offset:2080
	ds_read_b64 v[93:94], v108 offset:4160
	;; [unrolled: 1-line block ×6, first 2 shown]
	s_movk_i32 s2, 0x4e
	v_cmp_gt_u16_e64 s[2:3], s2, v107
                                        ; implicit-def: $vgpr62
	s_and_saveexec_b64 s[4:5], s[2:3]
	s_cbranch_execz .LBB0_7
; %bb.6:
	ds_read_b64 v[52:53], v108 offset:1456
	ds_read_b64 v[58:59], v108 offset:3536
	;; [unrolled: 1-line block ×7, first 2 shown]
.LBB0_7:
	s_or_b64 exec, exec, s[4:5]
	s_movk_i32 s4, 0x82
	v_add_u32_e32 v24, 0xffffff7e, v107
	v_cmp_gt_u16_e64 s[4:5], s4, v107
	v_cndmask_b32_e64 v99, v24, v107, s[4:5]
	v_mul_i32_i24_e32 v24, 48, v99
	v_mul_hi_i32_i24_e32 v25, 48, v99
	v_mov_b32_e32 v26, s15
	v_add_co_u32_e64 v24, s[4:5], s14, v24
	v_addc_co_u32_e64 v25, s[4:5], v26, v25, s[4:5]
	global_load_dwordx4 v[44:47], v[24:25], off offset:960
	global_load_dwordx4 v[40:43], v[24:25], off offset:976
	;; [unrolled: 1-line block ×3, first 2 shown]
	v_add_u32_e32 v24, 0xb6, v107
	s_movk_i32 s4, 0xfc1
	v_mul_u32_u24_sdwa v25, v24, s4 dst_sel:DWORD dst_unused:UNUSED_PAD src0_sel:WORD_0 src1_sel:DWORD
	v_lshrrev_b32_e32 v25, 19, v25
	v_mul_lo_u16_e32 v25, 0x82, v25
	v_sub_u16_e32 v100, v24, v25
	v_mul_lo_u16_e32 v24, 48, v100
	v_add_co_u32_e64 v97, s[4:5], s14, v24
	v_addc_co_u32_e64 v98, s[4:5], 0, v26, s[4:5]
	global_load_dwordx4 v[24:27], v[97:98], off offset:960
	global_load_dwordx4 v[32:35], v[97:98], off offset:976
	;; [unrolled: 1-line block ×3, first 2 shown]
	s_mov_b32 s4, 0x3f5ff5aa
	s_mov_b32 s5, 0x3f3bfb3b
	s_mov_b32 s12, 0xbf3bfb3b
	s_mov_b32 s16, 0xbeae86e6
	s_waitcnt vmcnt(0) lgkmcnt(0)
	s_barrier
	v_mul_f32_e32 v97, v96, v45
	v_mul_f32_e32 v101, v94, v47
	;; [unrolled: 1-line block ×12, first 2 shown]
	v_fma_f32 v95, v95, v44, -v97
	v_fma_f32 v93, v93, v46, -v101
	;; [unrolled: 1-line block ×4, first 2 shown]
	v_fmac_f32_e32 v98, v96, v44
	v_fmac_f32_e32 v102, v94, v46
	v_fma_f32 v70, v70, v40, -v103
	v_fmac_f32_e32 v104, v71, v40
	v_fma_f32 v68, v68, v42, -v105
	v_fmac_f32_e32 v106, v69, v42
	v_fmac_f32_e32 v114, v67, v36
	;; [unrolled: 1-line block ×3, first 2 shown]
	v_add_f32_e32 v65, v95, v64
	v_add_f32_e32 v71, v93, v66
	;; [unrolled: 1-line block ×3, first 2 shown]
	v_sub_f32_e32 v64, v95, v64
	v_sub_f32_e32 v69, v98, v116
	v_add_f32_e32 v94, v102, v114
	v_sub_f32_e32 v66, v93, v66
	v_sub_f32_e32 v93, v102, v114
	v_add_f32_e32 v95, v70, v68
	v_add_f32_e32 v96, v104, v106
	v_sub_f32_e32 v68, v68, v70
	v_sub_f32_e32 v70, v106, v104
	v_mul_f32_e32 v98, v58, v25
	v_mul_f32_e32 v102, v56, v27
	;; [unrolled: 1-line block ×6, first 2 shown]
	v_add_f32_e32 v117, v71, v65
	v_mul_f32_e32 v97, v59, v25
	v_mul_f32_e32 v101, v57, v27
	;; [unrolled: 1-line block ×6, first 2 shown]
	v_fmac_f32_e32 v98, v59, v24
	v_fmac_f32_e32 v102, v57, v26
	;; [unrolled: 1-line block ×5, first 2 shown]
	v_fma_f32 v49, v62, v30, -v115
	v_add_f32_e32 v51, v94, v67
	v_sub_f32_e32 v55, v71, v65
	v_sub_f32_e32 v57, v94, v67
	;; [unrolled: 1-line block ×5, first 2 shown]
	v_add_f32_e32 v62, v68, v66
	v_add_f32_e32 v95, v95, v117
	v_fmac_f32_e32 v116, v63, v30
	v_sub_f32_e32 v71, v96, v94
	v_add_f32_e32 v63, v70, v93
	v_sub_f32_e32 v94, v68, v66
	v_sub_f32_e32 v68, v64, v68
	;; [unrolled: 1-line block ×3, first 2 shown]
	v_add_f32_e32 v51, v96, v51
	v_add_f32_e32 v64, v62, v64
	;; [unrolled: 1-line block ×3, first 2 shown]
	v_fma_f32 v58, v58, v24, -v97
	v_fma_f32 v54, v54, v32, -v103
	v_sub_f32_e32 v97, v70, v93
	v_sub_f32_e32 v70, v69, v70
	;; [unrolled: 1-line block ×3, first 2 shown]
	v_add_f32_e32 v69, v63, v69
	v_add_f32_e32 v63, v61, v51
	v_mov_b32_e32 v103, v62
	v_fma_f32 v56, v56, v26, -v101
	v_mul_f32_e32 v59, 0x3f4a47b2, v59
	v_mul_f32_e32 v61, 0x3d64c772, v67
	;; [unrolled: 1-line block ×4, first 2 shown]
	v_fmac_f32_e32 v103, 0xbf955555, v95
	v_mov_b32_e32 v95, v63
	v_mul_f32_e32 v60, 0x3f4a47b2, v65
	v_mul_f32_e32 v65, 0x3d64c772, v71
	;; [unrolled: 1-line block ×4, first 2 shown]
	v_fmac_f32_e32 v95, 0xbf955555, v51
	v_fma_f32 v51, v55, s5, -v61
	v_fma_f32 v55, v55, s12, -v59
	v_fmac_f32_e32 v59, 0x3d64c772, v67
	v_fma_f32 v93, v93, s4, -v97
	v_fmac_f32_e32 v97, 0x3eae86e6, v70
	v_fma_f32 v101, v70, s16, -v101
	v_fma_f32 v48, v48, v28, -v113
	;; [unrolled: 1-line block ×4, first 2 shown]
	v_fmac_f32_e32 v60, 0x3d64c772, v71
	v_fma_f32 v71, v66, s4, -v96
	v_fmac_f32_e32 v96, 0x3eae86e6, v68
	v_fma_f32 v94, v68, s16, -v94
	v_add_f32_e32 v59, v59, v103
	v_add_f32_e32 v51, v51, v103
	v_add_f32_e32 v55, v55, v103
	v_fmac_f32_e32 v97, 0x3ee1c552, v69
	v_fmac_f32_e32 v93, 0x3ee1c552, v69
	;; [unrolled: 1-line block ×3, first 2 shown]
	v_fma_f32 v50, v50, v34, -v105
	v_add_f32_e32 v60, v60, v95
	v_add_f32_e32 v61, v61, v95
	;; [unrolled: 1-line block ×3, first 2 shown]
	v_fmac_f32_e32 v96, 0x3ee1c552, v64
	v_fmac_f32_e32 v71, 0x3ee1c552, v64
	v_fmac_f32_e32 v94, 0x3ee1c552, v64
	v_add_f32_e32 v64, v97, v59
	v_add_f32_e32 v66, v101, v55
	v_sub_f32_e32 v68, v51, v93
	v_add_f32_e32 v70, v93, v51
	v_sub_f32_e32 v93, v55, v101
	v_sub_f32_e32 v95, v59, v97
	v_add_f32_e32 v51, v58, v49
	v_add_f32_e32 v55, v98, v116
	v_sub_f32_e32 v49, v58, v49
	v_add_f32_e32 v58, v56, v48
	v_add_f32_e32 v59, v102, v114
	v_sub_f32_e32 v65, v60, v96
	v_sub_f32_e32 v67, v57, v94
	v_add_f32_e32 v69, v71, v61
	v_sub_f32_e32 v71, v61, v71
	v_add_f32_e32 v94, v94, v57
	v_add_f32_e32 v96, v96, v60
	v_sub_f32_e32 v57, v98, v116
	v_add_f32_e32 v60, v54, v50
	v_add_f32_e32 v61, v104, v106
	;; [unrolled: 1-line block ×4, first 2 shown]
	v_sub_f32_e32 v48, v56, v48
	v_sub_f32_e32 v56, v102, v114
	;; [unrolled: 1-line block ×10, first 2 shown]
	v_add_f32_e32 v60, v60, v97
	v_add_f32_e32 v61, v61, v98
	;; [unrolled: 1-line block ×4, first 2 shown]
	v_sub_f32_e32 v105, v50, v48
	v_sub_f32_e32 v106, v54, v56
	;; [unrolled: 1-line block ×3, first 2 shown]
	v_add_f32_e32 v52, v52, v60
	v_add_f32_e32 v53, v53, v61
	v_sub_f32_e32 v50, v49, v50
	v_sub_f32_e32 v113, v57, v54
	;; [unrolled: 1-line block ×3, first 2 shown]
	v_add_f32_e32 v49, v103, v49
	v_add_f32_e32 v97, v104, v57
	v_mul_f32_e32 v51, 0x3f4a47b2, v51
	v_mul_f32_e32 v98, 0x3f4a47b2, v55
	;; [unrolled: 1-line block ×7, first 2 shown]
	v_mov_b32_e32 v106, v52
	v_mov_b32_e32 v114, v53
	v_fmac_f32_e32 v106, 0xbf955555, v60
	v_fmac_f32_e32 v114, 0xbf955555, v61
	v_fma_f32 v60, v101, s5, -v57
	v_fma_f32 v61, v102, s5, -v103
	;; [unrolled: 1-line block ×3, first 2 shown]
	v_fmac_f32_e32 v51, 0x3d64c772, v58
	v_fma_f32 v103, v48, s4, -v54
	v_fma_f32 v115, v56, s4, -v55
	v_fmac_f32_e32 v55, 0x3eae86e6, v113
	v_fma_f32 v58, v113, s16, -v105
	s_movk_i32 s4, 0x81
	v_fmac_f32_e32 v55, 0x3ee1c552, v97
	v_fmac_f32_e32 v115, 0x3ee1c552, v97
	;; [unrolled: 1-line block ×3, first 2 shown]
	v_mov_b32_e32 v97, 0x38e
	v_cmp_lt_u16_e64 s[4:5], s4, v107
	v_mul_f32_e32 v104, 0x3f5ff5aa, v48
	v_fma_f32 v102, v102, s12, -v98
	v_fmac_f32_e32 v98, 0x3d64c772, v59
	v_cndmask_b32_e64 v97, 0, v97, s[4:5]
	v_fmac_f32_e32 v54, 0x3eae86e6, v50
	v_fma_f32 v57, v50, s16, -v104
	v_add_f32_e32 v56, v51, v106
	v_add_f32_e32 v59, v98, v114
	;; [unrolled: 1-line block ×4, first 2 shown]
	v_add_lshl_u32 v114, v99, v97, 3
	v_add_f32_e32 v50, v60, v106
	v_add_f32_e32 v60, v101, v106
	v_fmac_f32_e32 v54, 0x3ee1c552, v49
	v_fmac_f32_e32 v103, 0x3ee1c552, v49
	;; [unrolled: 1-line block ×3, first 2 shown]
	ds_write2_b64 v114, v[62:63], v[64:65] offset1:130
	v_add_u32_e32 v62, 0x800, v114
	v_sub_f32_e32 v48, v50, v115
	v_add_f32_e32 v49, v103, v51
	v_add_f32_e32 v50, v115, v50
	v_sub_f32_e32 v51, v51, v103
	v_sub_f32_e32 v105, v60, v58
	v_add_f32_e32 v106, v57, v61
	v_sub_f32_e32 v103, v56, v55
	v_add_f32_e32 v104, v54, v59
	ds_write2_b64 v62, v[66:67], v[68:69] offset0:4 offset1:134
	s_movk_i32 s12, 0x1000
	v_add_u32_e32 v62, 0x1000, v114
	v_lshlrev_b32_e32 v113, 3, v100
	ds_write2_b64 v62, v[70:71], v[93:94] offset0:8 offset1:138
	ds_write_b64 v114, v[95:96] offset:6240
	s_and_saveexec_b64 s[4:5], s[2:3]
	s_cbranch_execz .LBB0_9
; %bb.8:
	v_sub_f32_e32 v61, v61, v57
	v_sub_f32_e32 v57, v59, v54
	v_add_f32_e32 v56, v55, v56
	v_add_u32_e32 v54, 0x1c00, v113
	v_add_f32_e32 v60, v58, v60
	ds_write2_b64 v54, v[52:53], v[56:57] offset0:14 offset1:144
	v_add_u32_e32 v52, 0x2400, v113
	ds_write2_b64 v52, v[60:61], v[48:49] offset0:18 offset1:148
	v_add_u32_e32 v52, 0x2c00, v113
	ds_write2_b64 v52, v[50:51], v[105:106] offset0:22 offset1:152
	ds_write_b64 v113, v[103:104] offset:13520
.LBB0_9:
	s_or_b64 exec, exec, s[4:5]
	v_mov_b32_e32 v52, s15
	v_add_co_u32_e64 v56, s[4:5], s14, v108
	v_addc_co_u32_e64 v57, s[4:5], 0, v52, s[4:5]
	v_add_co_u32_e64 v52, s[4:5], s12, v56
	s_movk_i32 s16, 0x2000
	v_addc_co_u32_e64 v53, s[4:5], 0, v57, s[4:5]
	v_add_co_u32_e64 v54, s[4:5], s16, v56
	v_addc_co_u32_e64 v55, s[4:5], 0, v57, s[4:5]
	s_movk_i32 s12, 0x3000
	s_waitcnt lgkmcnt(0)
	s_barrier
	global_load_dwordx2 v[97:98], v[52:53], off offset:3104
	global_load_dwordx2 v[93:94], v[54:55], off offset:464
	;; [unrolled: 1-line block ×4, first 2 shown]
	v_add_co_u32_e64 v52, s[4:5], s12, v56
	v_addc_co_u32_e64 v53, s[4:5], 0, v57, s[4:5]
	global_load_dwordx2 v[101:102], v[52:53], off offset:736
	v_add_u32_e32 v129, 0x1600, v108
	v_mov_b32_e32 v60, s13
	v_add_u32_e32 v115, 0x2000, v108
	ds_read2_b64 v[56:59], v129 offset0:24 offset1:206
	ds_read2_b64 v[52:55], v108 offset1:182
	v_add_u32_e32 v130, 0xa00, v108
	v_add_u32_e32 v131, 0x2c00, v108
	v_addc_co_u32_e64 v122, s[0:1], 0, v60, s[0:1]
	ds_read2_b64 v[60:63], v115 offset0:68 offset1:250
	ds_read2_b64 v[64:67], v130 offset0:44 offset1:226
	;; [unrolled: 1-line block ×3, first 2 shown]
	s_movk_i32 s4, 0x38e0
	s_waitcnt vmcnt(4) lgkmcnt(4)
	v_mul_f32_e32 v116, v59, v98
	v_mul_f32_e32 v117, v58, v98
	s_waitcnt vmcnt(3) lgkmcnt(2)
	v_mul_f32_e32 v118, v61, v94
	v_mul_f32_e32 v119, v60, v94
	s_waitcnt vmcnt(2)
	v_mul_f32_e32 v120, v63, v96
	v_mul_f32_e32 v121, v62, v96
	s_waitcnt vmcnt(1) lgkmcnt(0)
	v_mul_f32_e32 v123, v69, v100
	v_mul_f32_e32 v124, v68, v100
	s_waitcnt vmcnt(0)
	v_mul_f32_e32 v125, v71, v102
	v_mul_f32_e32 v126, v70, v102
	v_fma_f32 v58, v58, v97, -v116
	v_fmac_f32_e32 v117, v59, v97
	v_fma_f32 v60, v60, v93, -v118
	v_fmac_f32_e32 v119, v61, v93
	;; [unrolled: 2-line block ×5, first 2 shown]
	v_sub_f32_e32 v58, v52, v58
	v_sub_f32_e32 v59, v53, v117
	;; [unrolled: 1-line block ×10, first 2 shown]
	v_fma_f32 v52, v52, 2.0, -v58
	v_fma_f32 v53, v53, 2.0, -v59
	;; [unrolled: 1-line block ×10, first 2 shown]
	ds_write_b64 v108, v[58:59] offset:7280
	ds_write2_b64 v108, v[52:53], v[54:55] offset1:182
	ds_write2_b64 v115, v[60:61], v[62:63] offset0:68 offset1:250
	ds_write2_b64 v130, v[64:65], v[66:67] offset0:44 offset1:226
	ds_write_b64 v108, v[56:57] offset:5824
	ds_write2_b64 v131, v[68:69], v[70:71] offset0:48 offset1:230
	v_add_co_u32_e64 v52, s[0:1], s12, v111
	v_addc_co_u32_e64 v53, s[0:1], 0, v122, s[0:1]
	s_waitcnt lgkmcnt(0)
	s_barrier
	global_load_dwordx2 v[56:57], v[52:53], off offset:2272
	v_add_co_u32_e64 v52, s[0:1], s4, v111
	v_addc_co_u32_e64 v53, s[0:1], 0, v122, s[0:1]
	s_movk_i32 s0, 0x4000
	global_load_dwordx2 v[58:59], v[52:53], off offset:1456
	v_add_co_u32_e64 v54, s[0:1], s0, v111
	v_addc_co_u32_e64 v55, s[0:1], 0, v122, s[0:1]
	s_movk_i32 s0, 0x5000
	global_load_dwordx2 v[68:69], v[54:55], off offset:2544
	global_load_dwordx2 v[70:71], v[52:53], off offset:2912
	v_add_co_u32_e64 v52, s[0:1], s0, v111
	v_addc_co_u32_e64 v53, s[0:1], 0, v122, s[0:1]
	s_movk_i32 s0, 0x6000
	global_load_dwordx2 v[116:117], v[54:55], off offset:4000
	global_load_dwordx2 v[118:119], v[52:53], off offset:1360
	;; [unrolled: 1-line block ×3, first 2 shown]
	v_add_co_u32_e64 v52, s[0:1], s0, v111
	v_addc_co_u32_e64 v53, s[0:1], 0, v122, s[0:1]
	global_load_dwordx2 v[122:123], v[52:53], off offset:176
	global_load_dwordx2 v[124:125], v[52:53], off offset:1632
	;; [unrolled: 1-line block ×3, first 2 shown]
	ds_read2_b64 v[52:55], v108 offset1:182
	s_waitcnt vmcnt(9) lgkmcnt(0)
	v_mul_f32_e32 v61, v53, v57
	v_mul_f32_e32 v60, v52, v57
	v_fmac_f32_e32 v60, v53, v56
	s_waitcnt vmcnt(8)
	v_mul_f32_e32 v62, v55, v59
	v_mul_f32_e32 v57, v54, v59
	v_fma_f32 v59, v52, v56, -v61
	v_fma_f32 v56, v54, v58, -v62
	v_fmac_f32_e32 v57, v55, v58
	ds_write2_b64 v108, v[59:60], v[56:57] offset1:182
	ds_read2_b64 v[52:55], v130 offset0:44 offset1:226
	ds_read2_b64 v[56:59], v129 offset0:24 offset1:206
	;; [unrolled: 1-line block ×4, first 2 shown]
	s_waitcnt vmcnt(6) lgkmcnt(3)
	v_mul_f32_e32 v111, v53, v71
	v_mul_f32_e32 v128, v52, v71
	;; [unrolled: 1-line block ×4, first 2 shown]
	s_waitcnt vmcnt(5) lgkmcnt(2)
	v_mul_f32_e32 v133, v57, v117
	v_mul_f32_e32 v69, v56, v117
	s_waitcnt vmcnt(4)
	v_mul_f32_e32 v134, v59, v119
	v_mul_f32_e32 v117, v58, v119
	s_waitcnt vmcnt(3) lgkmcnt(1)
	v_mul_f32_e32 v135, v61, v121
	v_mul_f32_e32 v119, v60, v121
	s_waitcnt vmcnt(2)
	v_mul_f32_e32 v136, v63, v123
	v_mul_f32_e32 v121, v62, v123
	s_waitcnt vmcnt(1) lgkmcnt(0)
	v_mul_f32_e32 v137, v65, v125
	v_mul_f32_e32 v123, v64, v125
	s_waitcnt vmcnt(0)
	v_mul_f32_e32 v138, v67, v127
	v_mul_f32_e32 v125, v66, v127
	v_fma_f32 v127, v52, v70, -v111
	v_fmac_f32_e32 v128, v53, v70
	v_fma_f32 v70, v54, v68, -v132
	v_fmac_f32_e32 v71, v55, v68
	;; [unrolled: 2-line block ×8, first 2 shown]
	ds_write2_b64 v130, v[127:128], v[70:71] offset0:44 offset1:226
	ds_write2_b64 v129, v[68:69], v[116:117] offset0:24 offset1:206
	;; [unrolled: 1-line block ×4, first 2 shown]
	s_waitcnt lgkmcnt(0)
	s_barrier
	ds_read2_b64 v[56:59], v108 offset1:182
	ds_read2_b64 v[52:55], v130 offset0:44 offset1:226
	ds_read2_b64 v[60:63], v129 offset0:24 offset1:206
	;; [unrolled: 1-line block ×4, first 2 shown]
	s_waitcnt lgkmcnt(0)
	v_add_f32_e32 v111, v56, v52
	v_sub_f32_e32 v120, v52, v60
	v_add_f32_e32 v116, v60, v64
	v_fma_f32 v116, -0.5, v116, v56
	v_sub_f32_e32 v117, v53, v69
	v_mov_b32_e32 v118, v116
	v_fmac_f32_e32 v118, 0xbf737871, v117
	v_sub_f32_e32 v119, v61, v65
	v_sub_f32_e32 v121, v68, v64
	v_fmac_f32_e32 v116, 0x3f737871, v117
	v_fmac_f32_e32 v118, 0xbf167918, v119
	v_add_f32_e32 v120, v120, v121
	v_fmac_f32_e32 v116, 0x3f167918, v119
	v_fmac_f32_e32 v118, 0x3e9e377a, v120
	;; [unrolled: 1-line block ×3, first 2 shown]
	v_add_f32_e32 v120, v52, v68
	v_fma_f32 v120, -0.5, v120, v56
	v_mov_b32_e32 v121, v120
	v_fmac_f32_e32 v121, 0x3f737871, v119
	v_sub_f32_e32 v56, v60, v52
	v_sub_f32_e32 v122, v64, v68
	v_fmac_f32_e32 v120, 0xbf737871, v119
	v_fmac_f32_e32 v121, 0xbf167918, v117
	v_add_f32_e32 v56, v56, v122
	v_fmac_f32_e32 v120, 0x3f167918, v117
	v_fmac_f32_e32 v121, 0x3e9e377a, v56
	;; [unrolled: 1-line block ×3, first 2 shown]
	v_add_f32_e32 v56, v57, v53
	v_add_f32_e32 v56, v56, v61
	;; [unrolled: 1-line block ×5, first 2 shown]
	v_fma_f32 v119, -0.5, v56, v57
	v_add_f32_e32 v111, v111, v60
	v_sub_f32_e32 v52, v52, v68
	v_mov_b32_e32 v122, v119
	v_add_f32_e32 v111, v111, v64
	v_fmac_f32_e32 v122, 0x3f737871, v52
	v_sub_f32_e32 v56, v60, v64
	v_sub_f32_e32 v60, v53, v61
	;; [unrolled: 1-line block ×3, first 2 shown]
	v_fmac_f32_e32 v119, 0xbf737871, v52
	v_fmac_f32_e32 v122, 0x3f167918, v56
	v_add_f32_e32 v60, v60, v64
	v_fmac_f32_e32 v119, 0xbf167918, v56
	v_fmac_f32_e32 v122, 0x3e9e377a, v60
	;; [unrolled: 1-line block ×3, first 2 shown]
	v_add_f32_e32 v60, v53, v69
	v_fma_f32 v123, -0.5, v60, v57
	v_mov_b32_e32 v124, v123
	v_fmac_f32_e32 v124, 0xbf737871, v56
	v_fmac_f32_e32 v123, 0x3f737871, v56
	;; [unrolled: 1-line block ×4, first 2 shown]
	v_add_f32_e32 v52, v58, v54
	v_add_f32_e32 v52, v52, v62
	;; [unrolled: 1-line block ×5, first 2 shown]
	v_sub_f32_e32 v53, v61, v53
	v_sub_f32_e32 v57, v65, v69
	v_fma_f32 v61, -0.5, v52, v58
	v_add_f32_e32 v53, v53, v57
	v_sub_f32_e32 v52, v55, v71
	v_mov_b32_e32 v57, v61
	v_fmac_f32_e32 v124, 0x3e9e377a, v53
	v_fmac_f32_e32 v123, 0x3e9e377a, v53
	;; [unrolled: 1-line block ×3, first 2 shown]
	v_sub_f32_e32 v53, v63, v67
	v_sub_f32_e32 v56, v54, v62
	;; [unrolled: 1-line block ×3, first 2 shown]
	v_fmac_f32_e32 v61, 0x3f737871, v52
	v_fmac_f32_e32 v57, 0xbf167918, v53
	v_add_f32_e32 v56, v56, v60
	v_fmac_f32_e32 v61, 0x3f167918, v53
	v_fmac_f32_e32 v57, 0x3e9e377a, v56
	;; [unrolled: 1-line block ×3, first 2 shown]
	v_add_f32_e32 v56, v54, v70
	v_fma_f32 v65, -0.5, v56, v58
	v_add_f32_e32 v111, v111, v68
	v_mov_b32_e32 v68, v65
	v_fmac_f32_e32 v68, 0x3f737871, v53
	v_fmac_f32_e32 v65, 0xbf737871, v53
	;; [unrolled: 1-line block ×4, first 2 shown]
	v_add_f32_e32 v52, v59, v55
	v_add_f32_e32 v52, v52, v63
	v_add_f32_e32 v52, v52, v67
	v_add_f32_e32 v69, v52, v71
	v_add_f32_e32 v52, v63, v67
	v_sub_f32_e32 v56, v62, v54
	v_sub_f32_e32 v58, v66, v70
	v_fma_f32 v125, -0.5, v52, v59
	v_add_f32_e32 v56, v56, v58
	v_sub_f32_e32 v52, v54, v70
	v_mov_b32_e32 v70, v125
	v_fmac_f32_e32 v68, 0x3e9e377a, v56
	v_fmac_f32_e32 v65, 0x3e9e377a, v56
	;; [unrolled: 1-line block ×3, first 2 shown]
	v_sub_f32_e32 v53, v62, v66
	v_sub_f32_e32 v54, v55, v63
	;; [unrolled: 1-line block ×3, first 2 shown]
	v_fmac_f32_e32 v125, 0xbf737871, v52
	v_fmac_f32_e32 v70, 0x3f167918, v53
	v_add_f32_e32 v54, v54, v56
	v_fmac_f32_e32 v125, 0xbf167918, v53
	v_fmac_f32_e32 v70, 0x3e9e377a, v54
	;; [unrolled: 1-line block ×3, first 2 shown]
	v_add_f32_e32 v54, v55, v71
	v_fmac_f32_e32 v59, -0.5, v54
	v_mov_b32_e32 v62, v59
	v_fmac_f32_e32 v62, 0xbf737871, v53
	v_sub_f32_e32 v54, v63, v55
	v_sub_f32_e32 v55, v67, v71
	v_fmac_f32_e32 v59, 0x3f737871, v53
	v_fmac_f32_e32 v62, 0x3f167918, v52
	v_add_f32_e32 v54, v54, v55
	v_fmac_f32_e32 v59, 0xbf167918, v52
	v_fmac_f32_e32 v62, 0x3e9e377a, v54
	;; [unrolled: 1-line block ×3, first 2 shown]
	v_mul_f32_e32 v63, 0xbf167918, v70
	v_mul_f32_e32 v66, 0xbf737871, v62
	;; [unrolled: 1-line block ×8, first 2 shown]
	v_fmac_f32_e32 v63, 0x3f4f1bbd, v57
	v_fmac_f32_e32 v66, 0x3e9e377a, v68
	;; [unrolled: 1-line block ×8, first 2 shown]
	v_add_f32_e32 v52, v111, v64
	v_add_f32_e32 v54, v118, v63
	;; [unrolled: 1-line block ×10, first 2 shown]
	v_sub_f32_e32 v62, v111, v64
	v_sub_f32_e32 v68, v118, v63
	;; [unrolled: 1-line block ×10, first 2 shown]
	s_barrier
	ds_write_b128 v112, v[52:55]
	ds_write_b128 v112, v[56:59] offset:16
	ds_write_b128 v112, v[60:63] offset:32
	ds_write_b128 v112, v[68:71] offset:48
	ds_write_b128 v112, v[64:67] offset:64
	s_waitcnt lgkmcnt(0)
	s_barrier
	s_and_saveexec_b64 s[0:1], vcc
	s_cbranch_execz .LBB0_11
; %bb.10:
	v_add_u32_e32 v48, 0x800, v108
	ds_read2_b64 v[56:59], v48 offset0:24 offset1:164
	v_add_u32_e32 v48, 0x1000, v108
	ds_read2_b64 v[60:63], v48 offset0:48 offset1:188
	v_add_u32_e32 v48, 0x1800, v108
	ds_read2_b64 v[52:55], v108 offset1:140
	ds_read2_b64 v[68:71], v48 offset0:72 offset1:212
	ds_read2_b64 v[64:67], v115 offset0:96 offset1:236
	v_add_u32_e32 v48, 0x2a00, v108
	ds_read2_b64 v[48:51], v48 offset0:56 offset1:196
	ds_read_b64 v[105:106], v108 offset:13440
.LBB0_11:
	s_or_b64 exec, exec, s[0:1]
	s_waitcnt lgkmcnt(4)
	v_mul_f32_e32 v111, v17, v55
	v_mul_f32_e32 v17, v17, v54
	v_fmac_f32_e32 v111, v16, v54
	v_fma_f32 v54, v16, v55, -v17
	v_mul_f32_e32 v17, v19, v56
	v_mul_f32_e32 v16, v19, v57
	v_fma_f32 v55, v18, v57, -v17
	v_mul_f32_e32 v17, v9, v59
	v_mul_f32_e32 v9, v9, v58
	v_fmac_f32_e32 v16, v18, v56
	v_fmac_f32_e32 v17, v8, v58
	v_fma_f32 v57, v8, v59, -v9
	v_mul_f32_e32 v18, v11, v61
	v_mul_f32_e32 v8, v11, v60
	;; [unrolled: 1-line block ×4, first 2 shown]
	s_waitcnt lgkmcnt(3)
	v_mul_f32_e32 v56, v7, v69
	v_mul_f32_e32 v58, v1, v71
	;; [unrolled: 1-line block ×3, first 2 shown]
	v_fmac_f32_e32 v18, v10, v60
	v_fma_f32 v59, v10, v61, -v8
	v_fmac_f32_e32 v19, v4, v62
	v_fma_f32 v61, v4, v63, -v5
	v_fmac_f32_e32 v56, v6, v68
	v_mul_f32_e32 v4, v7, v68
	v_fmac_f32_e32 v58, v0, v70
	v_fma_f32 v68, v0, v71, -v1
	s_waitcnt lgkmcnt(2)
	v_mul_f32_e32 v60, v3, v65
	v_mul_f32_e32 v0, v3, v64
	v_fmac_f32_e32 v60, v2, v64
	v_fma_f32 v64, v2, v65, -v0
	v_mul_f32_e32 v62, v21, v67
	v_mul_f32_e32 v0, v21, v66
	v_fmac_f32_e32 v62, v20, v66
	v_fma_f32 v65, v20, v67, -v0
	s_waitcnt lgkmcnt(1)
	v_mul_f32_e32 v20, v23, v49
	v_mul_f32_e32 v0, v23, v48
	v_fmac_f32_e32 v20, v22, v48
	v_fma_f32 v22, v22, v49, -v0
	v_mul_f32_e32 v21, v13, v51
	v_mul_f32_e32 v0, v13, v50
	v_fmac_f32_e32 v21, v12, v50
	v_fma_f32 v13, v12, v51, -v0
	s_waitcnt lgkmcnt(0)
	v_mul_f32_e32 v12, v15, v106
	v_mul_f32_e32 v0, v15, v105
	v_fmac_f32_e32 v12, v14, v105
	v_fma_f32 v14, v14, v106, -v0
	v_sub_f32_e32 v1, v54, v14
	v_add_f32_e32 v135, v12, v111
	v_add_f32_e32 v0, v14, v54
	s_mov_b32 s4, 0x3f62ad3f
	v_mul_f32_e32 v15, 0xbeedf032, v1
	v_sub_f32_e32 v106, v55, v13
	v_mul_f32_e32 v23, 0x3f62ad3f, v0
	v_fma_f32 v2, v135, s4, -v15
	s_mov_b32 s1, 0x3f116cb1
	v_add_f32_e32 v147, v21, v16
	v_add_f32_e32 v71, v13, v55
	v_mul_f32_e32 v50, 0xbf52af12, v106
	v_fma_f32 v63, v6, v69, -v4
	v_sub_f32_e32 v136, v111, v12
	v_add_f32_e32 v2, v52, v2
	v_mov_b32_e32 v3, v23
	v_mul_f32_e32 v51, 0x3f116cb1, v71
	v_fma_f32 v69, v147, s1, -v50
	v_fmac_f32_e32 v3, 0xbeedf032, v136
	v_sub_f32_e32 v150, v16, v21
	v_add_f32_e32 v2, v69, v2
	v_mov_b32_e32 v69, v51
	v_add_f32_e32 v3, v53, v3
	v_mul_f32_e32 v48, 0xbf52af12, v1
	v_fmac_f32_e32 v69, 0xbf52af12, v150
	v_mul_f32_e32 v49, 0x3f116cb1, v0
	v_fma_f32 v4, v135, s1, -v48
	s_mov_b32 s5, 0xbeb58ec6
	v_add_f32_e32 v3, v69, v3
	v_mul_f32_e32 v69, 0xbf6f5d39, v106
	v_add_f32_e32 v4, v52, v4
	v_mov_b32_e32 v5, v49
	v_mul_f32_e32 v70, 0xbeb58ec6, v71
	v_fma_f32 v115, v147, s5, -v69
	v_fmac_f32_e32 v5, 0xbf52af12, v136
	v_add_f32_e32 v4, v115, v4
	v_mov_b32_e32 v115, v70
	v_add_f32_e32 v5, v53, v5
	s_mov_b32 s0, 0x3df6dbef
	v_mul_f32_e32 v66, 0xbf7e222b, v1
	v_fmac_f32_e32 v115, 0xbf6f5d39, v150
	v_mul_f32_e32 v67, 0x3df6dbef, v0
	v_fma_f32 v6, v135, s0, -v66
	s_mov_b32 s13, 0xbf788fa5
	v_add_f32_e32 v5, v115, v5
	v_mul_f32_e32 v115, 0xbe750f2a, v106
	v_add_f32_e32 v6, v52, v6
	v_mov_b32_e32 v7, v67
	v_mul_f32_e32 v116, 0xbf788fa5, v71
	v_fma_f32 v117, v147, s13, -v115
	v_fmac_f32_e32 v7, 0xbf7e222b, v136
	v_mul_f32_e32 v105, 0xbf6f5d39, v1
	v_add_f32_e32 v6, v117, v6
	v_mov_b32_e32 v117, v116
	v_add_f32_e32 v7, v53, v7
	v_mul_f32_e32 v112, 0xbeb58ec6, v0
	v_fma_f32 v8, v135, s5, -v105
	s_mov_b32 s12, 0xbf3f9e67
	v_fmac_f32_e32 v117, 0xbe750f2a, v150
	v_mul_f32_e32 v122, 0x3f29c268, v106
	v_add_f32_e32 v8, v52, v8
	v_mov_b32_e32 v9, v112
	v_mul_f32_e32 v126, 0xbe750f2a, v1
	v_add_f32_e32 v7, v117, v7
	v_mul_f32_e32 v124, 0xbf3f9e67, v71
	v_fma_f32 v117, v147, s12, -v122
	v_fmac_f32_e32 v9, 0xbf6f5d39, v136
	v_mul_f32_e32 v118, 0xbf29c268, v1
	v_mul_f32_e32 v121, 0xbf3f9e67, v0
	;; [unrolled: 1-line block ×3, first 2 shown]
	v_fma_f32 v0, v135, s13, -v126
	v_add_f32_e32 v8, v117, v8
	v_mov_b32_e32 v117, v124
	v_mul_f32_e32 v140, 0x3eedf032, v106
	v_add_f32_e32 v9, v53, v9
	v_fma_f32 v10, v135, s12, -v118
	v_add_f32_e32 v0, v52, v0
	v_mov_b32_e32 v1, v129
	v_fmac_f32_e32 v117, 0x3f29c268, v150
	v_mul_f32_e32 v130, 0x3f7e222b, v106
	v_mul_f32_e32 v133, 0x3df6dbef, v71
	;; [unrolled: 1-line block ×3, first 2 shown]
	v_fma_f32 v71, v147, s4, -v140
	v_add_f32_e32 v10, v52, v10
	v_mov_b32_e32 v11, v121
	v_fmac_f32_e32 v1, 0xbe750f2a, v136
	v_add_f32_e32 v9, v117, v9
	v_fma_f32 v117, v147, s0, -v130
	v_add_f32_e32 v0, v71, v0
	v_mov_b32_e32 v71, v143
	v_fmac_f32_e32 v11, 0xbf29c268, v136
	v_add_f32_e32 v1, v53, v1
	v_add_f32_e32 v10, v117, v10
	v_mov_b32_e32 v117, v133
	v_fmac_f32_e32 v71, 0x3eedf032, v150
	v_sub_f32_e32 v123, v57, v22
	v_add_f32_e32 v11, v53, v11
	v_fmac_f32_e32 v117, 0x3f7e222b, v150
	v_add_f32_e32 v1, v71, v1
	v_add_f32_e32 v159, v20, v17
	;; [unrolled: 1-line block ×3, first 2 shown]
	v_mul_f32_e32 v71, 0xbf7e222b, v123
	v_add_f32_e32 v11, v117, v11
	v_mul_f32_e32 v106, 0x3df6dbef, v120
	v_fma_f32 v117, v159, s0, -v71
	v_sub_f32_e32 v160, v17, v20
	v_add_f32_e32 v2, v117, v2
	v_mov_b32_e32 v117, v106
	v_fmac_f32_e32 v117, 0xbf7e222b, v160
	v_add_f32_e32 v3, v117, v3
	v_mul_f32_e32 v117, 0xbe750f2a, v123
	v_mul_f32_e32 v119, 0xbf788fa5, v120
	v_fma_f32 v125, v159, s13, -v117
	v_add_f32_e32 v4, v125, v4
	v_mov_b32_e32 v125, v119
	v_fmac_f32_e32 v125, 0xbe750f2a, v160
	v_add_f32_e32 v5, v125, v5
	v_mul_f32_e32 v125, 0x3f6f5d39, v123
	v_mul_f32_e32 v127, 0xbeb58ec6, v120
	v_fma_f32 v128, v159, s5, -v125
	v_add_f32_e32 v6, v128, v6
	v_mov_b32_e32 v128, v127
	v_fmac_f32_e32 v128, 0x3f6f5d39, v160
	v_mul_f32_e32 v134, 0x3eedf032, v123
	v_add_f32_e32 v7, v128, v7
	v_mul_f32_e32 v138, 0x3f62ad3f, v120
	v_fma_f32 v128, v159, s4, -v134
	v_add_f32_e32 v8, v128, v8
	v_mov_b32_e32 v128, v138
	v_mul_f32_e32 v154, 0xbf29c268, v123
	v_fmac_f32_e32 v128, 0x3eedf032, v160
	v_mul_f32_e32 v144, 0xbf52af12, v123
	v_mul_f32_e32 v148, 0x3f116cb1, v120
	v_mul_f32_e32 v157, 0xbf3f9e67, v120
	v_fma_f32 v120, v159, s12, -v154
	v_add_f32_e32 v9, v128, v9
	v_fma_f32 v128, v159, s1, -v144
	v_add_f32_e32 v0, v120, v0
	v_mov_b32_e32 v120, v157
	v_add_f32_e32 v10, v128, v10
	v_mov_b32_e32 v128, v148
	v_fmac_f32_e32 v120, 0xbf29c268, v160
	v_sub_f32_e32 v137, v59, v65
	v_fmac_f32_e32 v128, 0xbf52af12, v160
	v_add_f32_e32 v1, v120, v1
	v_add_f32_e32 v167, v62, v18
	v_add_f32_e32 v132, v65, v59
	v_mul_f32_e32 v120, 0xbf6f5d39, v137
	v_add_f32_e32 v11, v128, v11
	v_mul_f32_e32 v123, 0xbeb58ec6, v132
	v_fma_f32 v128, v167, s5, -v120
	v_sub_f32_e32 v168, v18, v62
	v_add_f32_e32 v2, v128, v2
	v_mov_b32_e32 v128, v123
	v_fmac_f32_e32 v128, 0xbf6f5d39, v168
	v_add_f32_e32 v3, v128, v3
	v_mul_f32_e32 v128, 0x3f29c268, v137
	v_mul_f32_e32 v131, 0xbf3f9e67, v132
	v_fma_f32 v139, v167, s12, -v128
	v_add_f32_e32 v4, v139, v4
	v_mov_b32_e32 v139, v131
	v_fmac_f32_e32 v139, 0x3f29c268, v168
	v_add_f32_e32 v5, v139, v5
	v_mul_f32_e32 v139, 0x3eedf032, v137
	v_mul_f32_e32 v141, 0x3f62ad3f, v132
	v_fma_f32 v142, v167, s4, -v139
	v_add_f32_e32 v6, v142, v6
	v_mov_b32_e32 v142, v141
	v_fmac_f32_e32 v142, 0x3eedf032, v168
	v_mul_f32_e32 v149, 0xbf7e222b, v137
	v_add_f32_e32 v7, v142, v7
	v_mul_f32_e32 v152, 0x3df6dbef, v132
	v_fma_f32 v142, v167, s0, -v149
	v_add_f32_e32 v8, v142, v8
	v_mov_b32_e32 v142, v152
	v_mul_f32_e32 v166, 0x3f52af12, v137
	v_fmac_f32_e32 v142, 0xbf7e222b, v168
	v_mul_f32_e32 v158, 0x3e750f2a, v137
	v_mul_f32_e32 v162, 0xbf788fa5, v132
	;; [unrolled: 1-line block ×3, first 2 shown]
	v_fma_f32 v132, v167, s1, -v166
	v_add_f32_e32 v9, v142, v9
	v_fma_f32 v142, v167, s13, -v158
	v_add_f32_e32 v0, v132, v0
	v_mov_b32_e32 v132, v170
	v_add_f32_e32 v10, v142, v10
	v_mov_b32_e32 v142, v162
	v_fmac_f32_e32 v132, 0x3f52af12, v168
	v_sub_f32_e32 v151, v61, v64
	v_fmac_f32_e32 v142, 0x3e750f2a, v168
	v_add_f32_e32 v1, v132, v1
	v_add_f32_e32 v175, v60, v19
	;; [unrolled: 1-line block ×3, first 2 shown]
	v_mul_f32_e32 v132, 0xbf29c268, v151
	v_add_f32_e32 v11, v142, v11
	v_mul_f32_e32 v137, 0xbf3f9e67, v146
	v_fma_f32 v142, v175, s12, -v132
	v_sub_f32_e32 v176, v19, v60
	v_add_f32_e32 v2, v142, v2
	v_mov_b32_e32 v142, v137
	v_fmac_f32_e32 v142, 0xbf29c268, v176
	v_add_f32_e32 v3, v142, v3
	v_mul_f32_e32 v142, 0x3f7e222b, v151
	v_mul_f32_e32 v145, 0x3df6dbef, v146
	v_fma_f32 v153, v175, s0, -v142
	v_add_f32_e32 v4, v153, v4
	v_mov_b32_e32 v153, v145
	v_fmac_f32_e32 v153, 0x3f7e222b, v176
	v_add_f32_e32 v5, v153, v5
	v_mul_f32_e32 v153, 0xbf52af12, v151
	v_mul_f32_e32 v155, 0x3f116cb1, v146
	v_fma_f32 v156, v175, s1, -v153
	v_add_f32_e32 v6, v156, v6
	v_mov_b32_e32 v156, v155
	v_fmac_f32_e32 v156, 0xbf52af12, v176
	v_mul_f32_e32 v163, 0x3e750f2a, v151
	v_add_f32_e32 v7, v156, v7
	v_mul_f32_e32 v164, 0xbf788fa5, v146
	v_fma_f32 v156, v175, s13, -v163
	v_add_f32_e32 v179, v156, v8
	v_mov_b32_e32 v8, v164
	v_fmac_f32_e32 v8, 0x3e750f2a, v176
	v_mul_f32_e32 v171, 0x3eedf032, v151
	v_add_f32_e32 v180, v8, v9
	;; [unrolled: 7-line block ×3, first 2 shown]
	v_mul_f32_e32 v178, 0xbeb58ec6, v146
	v_fma_f32 v8, v175, s5, -v177
	v_add_f32_e32 v0, v8, v0
	v_mov_b32_e32 v8, v178
	v_sub_f32_e32 v183, v63, v68
	v_fmac_f32_e32 v8, 0xbf6f5d39, v176
	v_add_f32_e32 v181, v58, v56
	v_add_f32_e32 v184, v68, v63
	v_mul_f32_e32 v146, 0xbe750f2a, v183
	v_add_f32_e32 v1, v8, v1
	v_mul_f32_e32 v151, 0xbf788fa5, v184
	v_fma_f32 v8, v181, s13, -v146
	v_sub_f32_e32 v182, v56, v58
	v_add_f32_e32 v2, v8, v2
	v_mov_b32_e32 v8, v151
	v_fmac_f32_e32 v8, 0xbe750f2a, v182
	v_mul_f32_e32 v156, 0x3eedf032, v183
	v_add_f32_e32 v3, v8, v3
	v_mul_f32_e32 v161, 0x3f62ad3f, v184
	v_fma_f32 v8, v181, s4, -v156
	v_add_f32_e32 v4, v8, v4
	v_mov_b32_e32 v8, v161
	v_fmac_f32_e32 v8, 0x3eedf032, v182
	v_mul_f32_e32 v165, 0xbf29c268, v183
	v_add_f32_e32 v5, v8, v5
	v_mul_f32_e32 v169, 0xbf3f9e67, v184
	v_fma_f32 v8, v181, s12, -v165
	v_add_f32_e32 v8, v8, v6
	v_mov_b32_e32 v6, v169
	v_fmac_f32_e32 v6, 0xbf29c268, v182
	v_mul_f32_e32 v173, 0x3f52af12, v183
	v_mul_f32_e32 v174, 0x3f116cb1, v184
	v_add_f32_e32 v9, v6, v7
	v_fma_f32 v6, v181, s1, -v173
	v_mov_b32_e32 v7, v174
	v_add_f32_e32 v6, v6, v179
	v_fmac_f32_e32 v7, 0x3f52af12, v182
	v_mul_f32_e32 v179, 0xbf6f5d39, v183
	v_add_f32_e32 v7, v7, v180
	v_mul_f32_e32 v180, 0xbeb58ec6, v184
	v_fma_f32 v185, v181, s5, -v179
	v_add_f32_e32 v10, v185, v10
	v_mov_b32_e32 v185, v180
	v_fmac_f32_e32 v185, 0xbf6f5d39, v182
	v_mul_f32_e32 v183, 0x3f7e222b, v183
	v_add_f32_e32 v11, v185, v11
	v_mul_f32_e32 v184, 0x3df6dbef, v184
	v_fma_f32 v185, v181, s0, -v183
	v_add_f32_e32 v0, v185, v0
	v_mov_b32_e32 v185, v184
	v_fmac_f32_e32 v185, 0x3f7e222b, v182
	v_add_f32_e32 v1, v185, v1
	s_barrier
	s_and_saveexec_b64 s[0:1], vcc
	s_cbranch_execz .LBB0_13
; %bb.12:
	v_mul_f32_e32 v186, 0xbeedf032, v136
	v_mul_f32_e32 v188, 0xbf52af12, v136
	;; [unrolled: 1-line block ×12, first 2 shown]
	v_sub_f32_e32 v129, v129, v136
	v_mul_f32_e32 v206, 0xbf7e222b, v160
	v_mul_f32_e32 v208, 0xbe750f2a, v160
	v_mul_f32_e32 v210, 0x3f6f5d39, v160
	v_mul_f32_e32 v212, 0x3eedf032, v160
	v_mul_f32_e32 v214, 0xbf52af12, v160
	v_mul_f32_e32 v160, 0xbf29c268, v160
	v_add_f32_e32 v129, v53, v129
	v_sub_f32_e32 v136, v143, v150
	v_mul_f32_e32 v216, 0xbf6f5d39, v168
	v_mul_f32_e32 v218, 0x3f29c268, v168
	v_mul_f32_e32 v220, 0x3eedf032, v168
	v_mul_f32_e32 v222, 0xbf7e222b, v168
	v_mul_f32_e32 v224, 0x3e750f2a, v168
	v_mul_f32_e32 v168, 0x3f52af12, v168
	v_add_f32_e32 v129, v136, v129
	;; [unrolled: 8-line block ×3, first 2 shown]
	v_sub_f32_e32 v136, v170, v168
	v_mul_f32_e32 v185, 0x3f62ad3f, v135
	v_mul_f32_e32 v187, 0x3f116cb1, v135
	;; [unrolled: 1-line block ×12, first 2 shown]
	v_add_f32_e32 v129, v136, v129
	v_sub_f32_e32 v136, v178, v176
	v_mul_f32_e32 v195, 0x3f116cb1, v147
	v_mul_f32_e32 v197, 0xbeb58ec6, v147
	;; [unrolled: 1-line block ×6, first 2 shown]
	v_add_f32_e32 v129, v136, v129
	v_sub_f32_e32 v136, v184, v182
	v_add_f32_e32 v126, v135, v126
	v_mul_f32_e32 v205, 0x3df6dbef, v159
	v_mul_f32_e32 v207, 0xbf788fa5, v159
	v_mul_f32_e32 v209, 0xbeb58ec6, v159
	v_mul_f32_e32 v211, 0x3f62ad3f, v159
	v_mul_f32_e32 v213, 0x3f116cb1, v159
	v_mul_f32_e32 v159, 0xbf3f9e67, v159
	v_add_f32_e32 v136, v136, v129
	v_add_f32_e32 v126, v52, v126
	v_add_f32_e32 v129, v147, v140
	v_sub_f32_e32 v23, v23, v186
	v_mul_f32_e32 v215, 0xbeb58ec6, v167
	v_mul_f32_e32 v217, 0xbf3f9e67, v167
	v_mul_f32_e32 v219, 0x3f62ad3f, v167
	v_mul_f32_e32 v221, 0x3df6dbef, v167
	v_mul_f32_e32 v223, 0xbf788fa5, v167
	v_mul_f32_e32 v167, 0x3f116cb1, v167
	v_add_f32_e32 v126, v129, v126
	v_add_f32_e32 v129, v159, v154
	v_add_f32_e32 v23, v53, v23
	v_sub_f32_e32 v51, v51, v196
	;; [unrolled: 10-line block ×4, first 2 shown]
	v_add_f32_e32 v126, v129, v126
	v_add_f32_e32 v129, v181, v183
	v_sub_f32_e32 v121, v121, v194
	v_add_f32_e32 v23, v51, v23
	v_sub_f32_e32 v51, v137, v226
	v_add_f32_e32 v135, v129, v126
	v_add_f32_e32 v121, v53, v121
	v_sub_f32_e32 v126, v133, v204
	v_add_f32_e32 v23, v51, v23
	v_sub_f32_e32 v51, v151, v236
	v_add_f32_e32 v15, v185, v15
	v_add_f32_e32 v121, v126, v121
	v_sub_f32_e32 v126, v148, v214
	v_add_f32_e32 v51, v51, v23
	v_add_f32_e32 v15, v52, v15
	;; [unrolled: 1-line block ×4, first 2 shown]
	v_sub_f32_e32 v126, v162, v224
	v_add_f32_e32 v15, v23, v15
	v_add_f32_e32 v23, v205, v71
	v_add_f32_e32 v121, v126, v121
	v_sub_f32_e32 v126, v172, v234
	v_add_f32_e32 v15, v23, v15
	v_add_f32_e32 v23, v215, v120
	v_add_f32_e32 v121, v126, v121
	;; [unrolled: 4-line block ×3, first 2 shown]
	v_add_f32_e32 v148, v126, v121
	v_add_f32_e32 v118, v52, v118
	;; [unrolled: 1-line block ×17, first 2 shown]
	v_sub_f32_e32 v112, v112, v192
	v_add_f32_e32 v15, v59, v15
	v_add_f32_e32 v147, v121, v118
	;; [unrolled: 1-line block ×3, first 2 shown]
	v_sub_f32_e32 v118, v124, v202
	v_add_f32_e32 v15, v61, v15
	v_add_f32_e32 v112, v118, v112
	v_sub_f32_e32 v118, v138, v212
	v_add_f32_e32 v15, v63, v15
	v_add_f32_e32 v112, v118, v112
	;; [unrolled: 3-line block ×5, first 2 shown]
	v_add_f32_e32 v130, v118, v112
	v_add_f32_e32 v105, v52, v105
	;; [unrolled: 1-line block ×16, first 2 shown]
	v_sub_f32_e32 v67, v67, v190
	v_add_f32_e32 v14, v17, v14
	v_add_f32_e32 v129, v112, v105
	v_add_f32_e32 v67, v53, v67
	v_sub_f32_e32 v105, v116, v200
	v_add_f32_e32 v14, v18, v14
	v_add_f32_e32 v67, v105, v67
	v_sub_f32_e32 v105, v127, v210
	v_add_f32_e32 v14, v19, v14
	v_add_f32_e32 v67, v105, v67
	;; [unrolled: 3-line block ×4, first 2 shown]
	v_sub_f32_e32 v105, v169, v240
	v_add_f32_e32 v66, v189, v66
	v_sub_f32_e32 v49, v49, v188
	v_add_f32_e32 v48, v187, v48
	v_add_f32_e32 v14, v60, v14
	v_add_f32_e32 v67, v105, v67
	v_add_f32_e32 v66, v52, v66
	v_add_f32_e32 v105, v199, v115
	v_add_f32_e32 v49, v53, v49
	v_sub_f32_e32 v70, v70, v198
	v_add_f32_e32 v48, v52, v48
	v_add_f32_e32 v69, v197, v69
	v_add_f32_e32 v14, v62, v14
	v_add_f32_e32 v66, v105, v66
	v_add_f32_e32 v105, v209, v125
	;; [unrolled: 7-line block ×4, first 2 shown]
	v_add_f32_e32 v49, v70, v49
	v_sub_f32_e32 v70, v145, v228
	v_add_f32_e32 v48, v69, v48
	v_add_f32_e32 v69, v227, v142
	;; [unrolled: 1-line block ×3, first 2 shown]
	v_mul_u32_u24_e32 v14, 0x82, v109
	v_add_f32_e32 v66, v105, v66
	v_add_f32_e32 v105, v239, v165
	;; [unrolled: 1-line block ×3, first 2 shown]
	v_sub_f32_e32 v70, v161, v238
	v_add_f32_e32 v48, v69, v48
	v_add_f32_e32 v69, v237, v156
	v_add_lshl_u32 v14, v14, v110, 3
	v_add_f32_e32 v66, v105, v66
	v_add_f32_e32 v49, v70, v49
	;; [unrolled: 1-line block ×3, first 2 shown]
	ds_write2_b64 v14, v[12:13], v[50:51] offset1:10
	ds_write2_b64 v14, v[48:49], v[66:67] offset0:20 offset1:30
	ds_write2_b64 v14, v[129:130], v[147:148] offset0:40 offset1:50
	;; [unrolled: 1-line block ×5, first 2 shown]
	ds_write_b64 v14, v[2:3] offset:960
.LBB0_13:
	s_or_b64 exec, exec, s[0:1]
	s_waitcnt lgkmcnt(0)
	s_barrier
	ds_read_b64 v[12:13], v108
	ds_read_b64 v[48:49], v108 offset:2080
	ds_read_b64 v[22:23], v108 offset:4160
	;; [unrolled: 1-line block ×6, first 2 shown]
	s_and_saveexec_b64 s[0:1], s[2:3]
	s_cbranch_execz .LBB0_15
; %bb.14:
	ds_read_b64 v[0:1], v108 offset:1456
	ds_read_b64 v[10:11], v108 offset:3536
	;; [unrolled: 1-line block ×7, first 2 shown]
.LBB0_15:
	s_or_b64 exec, exec, s[0:1]
	s_waitcnt lgkmcnt(5)
	v_mul_f32_e32 v50, v45, v49
	v_mul_f32_e32 v45, v45, v48
	v_fmac_f32_e32 v50, v44, v48
	v_fma_f32 v44, v44, v49, -v45
	s_waitcnt lgkmcnt(4)
	v_mul_f32_e32 v45, v47, v23
	v_fmac_f32_e32 v45, v46, v22
	v_mul_f32_e32 v22, v47, v22
	v_fma_f32 v22, v46, v23, -v22
	s_waitcnt lgkmcnt(3)
	v_mul_f32_e32 v23, v41, v21
	v_fmac_f32_e32 v23, v40, v20
	v_mul_f32_e32 v20, v41, v20
	;; [unrolled: 5-line block ×5, first 2 shown]
	v_fma_f32 v14, v38, v15, -v14
	v_add_f32_e32 v15, v50, v17
	v_add_f32_e32 v37, v45, v19
	;; [unrolled: 1-line block ×4, first 2 shown]
	v_sub_f32_e32 v16, v22, v16
	v_add_f32_e32 v22, v23, v21
	v_add_f32_e32 v39, v20, v18
	v_sub_f32_e32 v18, v18, v20
	v_add_f32_e32 v20, v37, v15
	v_sub_f32_e32 v21, v21, v23
	v_add_f32_e32 v23, v38, v36
	v_add_f32_e32 v20, v22, v20
	v_sub_f32_e32 v19, v45, v19
	v_sub_f32_e32 v40, v37, v15
	;; [unrolled: 1-line block ×4, first 2 shown]
	v_add_f32_e32 v22, v39, v23
	v_add_f32_e32 v12, v12, v20
	v_sub_f32_e32 v17, v50, v17
	v_sub_f32_e32 v14, v44, v14
	;; [unrolled: 1-line block ×5, first 2 shown]
	v_add_f32_e32 v42, v21, v19
	v_add_f32_e32 v43, v18, v16
	v_sub_f32_e32 v44, v21, v19
	v_sub_f32_e32 v45, v18, v16
	v_add_f32_e32 v13, v13, v22
	v_mov_b32_e32 v46, v12
	v_sub_f32_e32 v21, v17, v21
	v_sub_f32_e32 v18, v14, v18
	v_sub_f32_e32 v19, v19, v17
	v_sub_f32_e32 v16, v16, v14
	v_add_f32_e32 v17, v42, v17
	v_add_f32_e32 v14, v43, v14
	v_mul_f32_e32 v15, 0x3f4a47b2, v15
	v_mul_f32_e32 v23, 0x3f4a47b2, v36
	;; [unrolled: 1-line block ×6, first 2 shown]
	s_mov_b32 s4, 0xbf5ff5aa
	v_fmac_f32_e32 v46, 0xbf955555, v20
	v_mov_b32_e32 v20, v13
	s_mov_b32 s5, 0x3f3bfb3b
	s_mov_b32 s12, 0xbf3bfb3b
	v_mul_f32_e32 v44, 0xbf5ff5aa, v19
	v_mul_f32_e32 v45, 0xbf5ff5aa, v16
	v_fmac_f32_e32 v20, 0xbf955555, v22
	v_fma_f32 v22, v40, s5, -v36
	v_fma_f32 v36, v41, s5, -v39
	;; [unrolled: 1-line block ×3, first 2 shown]
	v_fmac_f32_e32 v15, 0x3d64c772, v37
	v_fma_f32 v37, v41, s12, -v23
	v_fmac_f32_e32 v23, 0x3d64c772, v38
	v_fma_f32 v38, v19, s4, -v42
	;; [unrolled: 2-line block ×3, first 2 shown]
	v_fmac_f32_e32 v43, 0xbeae86e6, v18
	s_mov_b32 s13, 0x3eae86e6
	v_fma_f32 v41, v21, s13, -v44
	v_fma_f32 v44, v18, s13, -v45
	v_add_f32_e32 v45, v15, v46
	v_add_f32_e32 v47, v23, v20
	v_fmac_f32_e32 v42, 0xbee1c552, v17
	v_fmac_f32_e32 v43, 0xbee1c552, v14
	v_add_f32_e32 v21, v22, v46
	v_add_f32_e32 v22, v36, v20
	;; [unrolled: 1-line block ×4, first 2 shown]
	v_fmac_f32_e32 v38, 0xbee1c552, v17
	v_fmac_f32_e32 v40, 0xbee1c552, v14
	;; [unrolled: 1-line block ×4, first 2 shown]
	v_add_f32_e32 v14, v43, v45
	v_sub_f32_e32 v15, v47, v42
	v_add_f32_e32 v16, v44, v23
	v_sub_f32_e32 v17, v36, v41
	v_sub_f32_e32 v18, v21, v40
	v_add_f32_e32 v19, v38, v22
	s_barrier
	ds_write2_b64 v114, v[12:13], v[14:15] offset1:130
	v_add_u32_e32 v12, 0x800, v114
	v_add_f32_e32 v20, v40, v21
	v_sub_f32_e32 v21, v22, v38
	v_sub_f32_e32 v22, v23, v44
	v_add_f32_e32 v23, v41, v36
	ds_write2_b64 v12, v[16:17], v[18:19] offset0:4 offset1:134
	v_add_u32_e32 v12, 0x1000, v114
	v_sub_f32_e32 v36, v45, v43
	v_add_f32_e32 v37, v42, v47
	ds_write2_b64 v12, v[20:21], v[22:23] offset0:8 offset1:138
	ds_write_b64 v114, v[36:37] offset:6240
	s_and_saveexec_b64 s[0:1], s[2:3]
	s_cbranch_execz .LBB0_17
; %bb.16:
	v_mul_f32_e32 v12, v25, v11
	v_mul_f32_e32 v15, v35, v5
	;; [unrolled: 1-line block ×3, first 2 shown]
	v_fmac_f32_e32 v12, v24, v10
	v_mul_f32_e32 v13, v31, v104
	v_fmac_f32_e32 v15, v34, v4
	v_fmac_f32_e32 v16, v32, v8
	v_mul_f32_e32 v20, v29, v3
	v_mul_f32_e32 v31, v31, v103
	;; [unrolled: 1-line block ×5, first 2 shown]
	v_fmac_f32_e32 v13, v30, v103
	v_fmac_f32_e32 v20, v28, v2
	v_fma_f32 v30, v30, v104, -v31
	v_fma_f32 v10, v24, v11, -v10
	;; [unrolled: 1-line block ×4, first 2 shown]
	v_mul_f32_e32 v2, v29, v2
	v_mul_f32_e32 v19, v27, v7
	v_add_f32_e32 v11, v30, v10
	v_add_f32_e32 v5, v8, v4
	v_fma_f32 v2, v28, v3, -v2
	v_mul_f32_e32 v3, v27, v6
	v_fmac_f32_e32 v19, v26, v6
	v_sub_f32_e32 v9, v11, v5
	v_fma_f32 v6, v26, v7, -v3
	v_mul_f32_e32 v9, 0x3f4a47b2, v9
	v_add_f32_e32 v7, v2, v6
	v_sub_f32_e32 v3, v5, v7
	v_mov_b32_e32 v25, v9
	v_mul_f32_e32 v24, 0x3d64c772, v3
	v_fmac_f32_e32 v25, 0x3d64c772, v3
	v_add_f32_e32 v3, v7, v11
	v_sub_f32_e32 v14, v12, v13
	v_add_f32_e32 v3, v5, v3
	v_add_f32_e32 v12, v13, v12
	;; [unrolled: 1-line block ×3, first 2 shown]
	v_sub_f32_e32 v13, v12, v5
	v_sub_f32_e32 v17, v15, v16
	v_mul_f32_e32 v13, 0x3f4a47b2, v13
	v_add_f32_e32 v15, v20, v19
	v_sub_f32_e32 v21, v19, v20
	v_sub_f32_e32 v16, v5, v15
	v_mov_b32_e32 v20, v13
	v_sub_f32_e32 v18, v14, v17
	v_sub_f32_e32 v22, v17, v21
	v_add_f32_e32 v17, v17, v21
	v_mul_f32_e32 v19, 0x3d64c772, v16
	v_fmac_f32_e32 v20, 0x3d64c772, v16
	v_add_f32_e32 v16, v15, v12
	v_sub_f32_e32 v4, v4, v8
	v_sub_f32_e32 v6, v6, v2
	v_mul_f32_e32 v22, 0x3f08b237, v22
	v_add_f32_e32 v17, v17, v14
	v_add_f32_e32 v1, v1, v3
	;; [unrolled: 1-line block ×3, first 2 shown]
	v_sub_f32_e32 v10, v10, v30
	v_sub_f32_e32 v2, v4, v6
	;; [unrolled: 1-line block ×3, first 2 shown]
	v_mov_b32_e32 v23, v22
	v_mov_b32_e32 v26, v1
	v_add_f32_e32 v0, v0, v5
	v_sub_f32_e32 v8, v10, v4
	v_mul_f32_e32 v27, 0x3f08b237, v2
	v_add_f32_e32 v2, v4, v6
	v_mul_f32_e32 v4, 0xbf5ff5aa, v14
	v_sub_f32_e32 v7, v7, v11
	v_fmac_f32_e32 v23, 0xbeae86e6, v18
	v_fmac_f32_e32 v26, 0xbf955555, v3
	v_mov_b32_e32 v16, v0
	v_fma_f32 v18, v18, s13, -v4
	v_fma_f32 v4, v7, s12, -v9
	v_sub_f32_e32 v9, v15, v12
	v_fmac_f32_e32 v16, 0xbf955555, v5
	v_add_f32_e32 v11, v4, v26
	v_fma_f32 v4, v9, s12, -v13
	v_sub_f32_e32 v6, v6, v10
	v_mov_b32_e32 v28, v27
	v_add_f32_e32 v12, v4, v16
	v_mul_f32_e32 v4, 0xbf5ff5aa, v6
	v_fmac_f32_e32 v28, 0xbeae86e6, v8
	v_add_f32_e32 v29, v2, v10
	v_fma_f32 v10, v8, s13, -v4
	v_fma_f32 v7, v7, s5, -v24
	;; [unrolled: 1-line block ×5, first 2 shown]
	v_fmac_f32_e32 v23, 0xbee1c552, v17
	v_add_f32_e32 v25, v25, v26
	v_add_f32_e32 v20, v20, v16
	v_fmac_f32_e32 v28, 0xbee1c552, v29
	v_fmac_f32_e32 v10, 0xbee1c552, v29
	v_add_f32_e32 v8, v7, v26
	v_fmac_f32_e32 v13, 0xbee1c552, v17
	v_fmac_f32_e32 v14, 0xbee1c552, v29
	v_add_f32_e32 v15, v6, v16
	v_fmac_f32_e32 v18, 0xbee1c552, v17
	v_sub_f32_e32 v4, v12, v10
	v_sub_f32_e32 v7, v8, v13
	v_add_f32_e32 v6, v14, v15
	v_add_f32_e32 v9, v13, v8
	v_sub_f32_e32 v8, v15, v14
	v_add_f32_e32 v10, v10, v12
	v_sub_f32_e32 v13, v25, v23
	v_add_f32_e32 v12, v28, v20
	v_add_u32_e32 v14, 0x1c00, v113
	v_add_f32_e32 v5, v18, v11
	v_sub_f32_e32 v11, v11, v18
	ds_write2_b64 v14, v[0:1], v[12:13] offset0:14 offset1:144
	v_add_u32_e32 v0, 0x2400, v113
	ds_write2_b64 v0, v[10:11], v[8:9] offset0:18 offset1:148
	v_add_u32_e32 v0, 0x2c00, v113
	v_add_f32_e32 v3, v23, v25
	v_sub_f32_e32 v2, v20, v28
	ds_write2_b64 v0, v[6:7], v[4:5] offset0:22 offset1:152
	ds_write_b64 v113, v[2:3] offset:13520
.LBB0_17:
	s_or_b64 exec, exec, s[0:1]
	v_add_u32_e32 v22, 0x1600, v108
	s_waitcnt lgkmcnt(0)
	s_barrier
	ds_read2_b64 v[4:7], v22 offset0:24 offset1:206
	v_add_u32_e32 v23, 0x2000, v108
	ds_read2_b64 v[8:11], v23 offset0:68 offset1:250
	v_add_u32_e32 v25, 0x2c00, v108
	ds_read2_b64 v[16:19], v25 offset0:48 offset1:230
	s_waitcnt lgkmcnt(2)
	v_mul_f32_e32 v26, v98, v7
	ds_read2_b64 v[0:3], v108 offset1:182
	v_add_u32_e32 v24, 0xa00, v108
	v_fmac_f32_e32 v26, v97, v6
	v_mul_f32_e32 v6, v98, v6
	ds_read2_b64 v[12:15], v24 offset0:44 offset1:226
	v_fma_f32 v7, v97, v7, -v6
	s_waitcnt lgkmcnt(3)
	v_mul_f32_e32 v6, v94, v8
	v_mul_f32_e32 v27, v94, v9
	v_fma_f32 v9, v93, v9, -v6
	v_mul_f32_e32 v6, v96, v10
	v_mul_f32_e32 v28, v96, v11
	v_fma_f32 v11, v95, v11, -v6
	s_waitcnt lgkmcnt(2)
	v_mul_f32_e32 v6, v100, v16
	v_fmac_f32_e32 v27, v93, v8
	v_mul_f32_e32 v29, v100, v17
	v_fma_f32 v17, v99, v17, -v6
	v_mul_f32_e32 v30, v102, v19
	v_mul_f32_e32 v6, v102, v18
	v_fmac_f32_e32 v28, v95, v10
	v_fmac_f32_e32 v29, v99, v16
	;; [unrolled: 1-line block ×3, first 2 shown]
	v_fma_f32 v19, v101, v19, -v6
	s_waitcnt lgkmcnt(1)
	v_sub_f32_e32 v6, v0, v26
	v_sub_f32_e32 v7, v1, v7
	;; [unrolled: 1-line block ×4, first 2 shown]
	v_fma_f32 v0, v0, 2.0, -v6
	v_fma_f32 v1, v1, 2.0, -v7
	;; [unrolled: 1-line block ×4, first 2 shown]
	s_waitcnt lgkmcnt(0)
	v_sub_f32_e32 v10, v12, v28
	v_sub_f32_e32 v11, v13, v11
	;; [unrolled: 1-line block ×6, first 2 shown]
	v_fma_f32 v12, v12, 2.0, -v10
	v_fma_f32 v13, v13, 2.0, -v11
	;; [unrolled: 1-line block ×6, first 2 shown]
	ds_write_b64 v108, v[6:7] offset:7280
	ds_write2_b64 v108, v[0:1], v[2:3] offset1:182
	ds_write2_b64 v23, v[8:9], v[10:11] offset0:68 offset1:250
	ds_write2_b64 v24, v[12:13], v[14:15] offset0:44 offset1:226
	ds_write_b64 v108, v[4:5] offset:5824
	ds_write2_b64 v25, v[16:17], v[18:19] offset0:48 offset1:230
	s_waitcnt lgkmcnt(0)
	s_barrier
	ds_read2_b64 v[0:3], v108 offset1:182
	v_mad_u64_u32 v[20:21], s[0:1], s10, v76, 0
	s_mov_b32 s0, 0x12012012
	s_mov_b32 s1, 0x3f420120
	s_waitcnt lgkmcnt(0)
	v_mul_f32_e32 v5, v92, v1
	v_fmac_f32_e32 v5, v91, v0
	v_cvt_f64_f32_e32 v[5:6], v5
	v_mul_f32_e32 v0, v92, v0
	v_fma_f32 v0, v91, v1, -v0
	v_cvt_f64_f32_e32 v[0:1], v0
	v_mul_f64 v[5:6], v[5:6], s[0:1]
	v_mad_u64_u32 v[7:8], s[2:3], s8, v107, 0
	v_mov_b32_e32 v4, v21
	v_mul_f64 v[0:1], v[0:1], s[0:1]
	v_mad_u64_u32 v[9:10], s[2:3], s11, v76, v[4:5]
	v_mov_b32_e32 v4, v8
	v_mad_u64_u32 v[10:11], s[2:3], s9, v107, v[4:5]
	v_mov_b32_e32 v21, v9
	v_mul_f32_e32 v9, v88, v3
	v_fmac_f32_e32 v9, v87, v2
	v_mov_b32_e32 v8, v10
	v_cvt_f64_f32_e32 v[9:10], v9
	v_cvt_f32_f64_e32 v4, v[5:6]
	v_cvt_f32_f64_e32 v5, v[0:1]
	v_lshlrev_b64 v[0:1], 3, v[20:21]
	v_mul_f32_e32 v2, v88, v2
	v_fma_f32 v2, v87, v3, -v2
	v_mov_b32_e32 v6, s7
	v_cvt_f64_f32_e32 v[2:3], v2
	v_add_co_u32_e32 v11, vcc, s6, v0
	v_addc_co_u32_e32 v12, vcc, v6, v1, vcc
	v_lshlrev_b64 v[0:1], 3, v[7:8]
	v_mul_f64 v[6:7], v[9:10], s[0:1]
	v_add_co_u32_e32 v10, vcc, v11, v0
	v_mul_f64 v[8:9], v[2:3], s[0:1]
	v_addc_co_u32_e32 v11, vcc, v12, v1, vcc
	ds_read2_b64 v[0:3], v24 offset0:44 offset1:226
	global_store_dwordx2 v[10:11], v[4:5], off
	v_cvt_f32_f64_e32 v4, v[6:7]
	s_mul_i32 s2, s9, 0x5b0
	s_mul_hi_u32 s3, s8, 0x5b0
	s_waitcnt lgkmcnt(0)
	v_mul_f32_e32 v6, v82, v1
	v_fmac_f32_e32 v6, v81, v0
	v_mul_f32_e32 v0, v82, v0
	v_fma_f32 v0, v81, v1, -v0
	v_cvt_f64_f32_e32 v[6:7], v6
	v_cvt_f64_f32_e32 v[0:1], v0
	v_cvt_f32_f64_e32 v5, v[8:9]
	s_add_i32 s2, s3, s2
	s_mul_i32 s3, s8, 0x5b0
	v_mov_b32_e32 v9, s2
	v_add_co_u32_e32 v8, vcc, s3, v10
	v_mul_f64 v[6:7], v[6:7], s[0:1]
	v_addc_co_u32_e32 v9, vcc, v11, v9, vcc
	v_mul_f64 v[0:1], v[0:1], s[0:1]
	global_store_dwordx2 v[8:9], v[4:5], off
	v_mul_f32_e32 v5, v90, v3
	v_fmac_f32_e32 v5, v89, v2
	v_mul_f32_e32 v2, v90, v2
	v_fma_f32 v2, v89, v3, -v2
	v_cvt_f64_f32_e32 v[2:3], v2
	v_cvt_f32_f64_e32 v4, v[6:7]
	v_cvt_f64_f32_e32 v[6:7], v5
	v_cvt_f32_f64_e32 v5, v[0:1]
	v_mul_f64 v[10:11], v[2:3], s[0:1]
	ds_read2_b64 v[0:3], v22 offset0:24 offset1:206
	v_mov_b32_e32 v12, s2
	v_add_co_u32_e32 v8, vcc, s3, v8
	v_addc_co_u32_e32 v9, vcc, v9, v12, vcc
	global_store_dwordx2 v[8:9], v[4:5], off
	s_waitcnt lgkmcnt(0)
	v_mul_f32_e32 v4, v84, v1
	v_fmac_f32_e32 v4, v83, v0
	v_cvt_f64_f32_e32 v[4:5], v4
	v_mul_f32_e32 v0, v84, v0
	v_fma_f32 v0, v83, v1, -v0
	v_mul_f64 v[6:7], v[6:7], s[0:1]
	v_mul_f64 v[4:5], v[4:5], s[0:1]
	v_cvt_f64_f32_e32 v[0:1], v0
	v_add_co_u32_e32 v8, vcc, s3, v8
	v_mul_f64 v[0:1], v[0:1], s[0:1]
	v_cvt_f32_f64_e32 v6, v[6:7]
	v_cvt_f32_f64_e32 v4, v[4:5]
	v_mul_f32_e32 v5, v78, v3
	v_fmac_f32_e32 v5, v77, v2
	v_mul_f32_e32 v2, v78, v2
	v_fma_f32 v2, v77, v3, -v2
	v_cvt_f32_f64_e32 v7, v[10:11]
	v_cvt_f64_f32_e32 v[2:3], v2
	v_mov_b32_e32 v10, s2
	v_addc_co_u32_e32 v9, vcc, v9, v10, vcc
	global_store_dwordx2 v[8:9], v[6:7], off
	v_cvt_f64_f32_e32 v[6:7], v5
	v_cvt_f32_f64_e32 v5, v[0:1]
	v_mul_f64 v[10:11], v[2:3], s[0:1]
	ds_read2_b64 v[0:3], v23 offset0:68 offset1:250
	v_add_co_u32_e32 v8, vcc, s3, v8
	v_addc_co_u32_e32 v9, vcc, v9, v12, vcc
	global_store_dwordx2 v[8:9], v[4:5], off
	s_waitcnt lgkmcnt(0)
	v_mul_f32_e32 v4, v86, v1
	v_fmac_f32_e32 v4, v85, v0
	v_cvt_f64_f32_e32 v[4:5], v4
	v_mul_f64 v[6:7], v[6:7], s[0:1]
	v_mul_f32_e32 v0, v86, v0
	v_fma_f32 v0, v85, v1, -v0
	v_mul_f64 v[4:5], v[4:5], s[0:1]
	v_cvt_f64_f32_e32 v[0:1], v0
	v_add_co_u32_e32 v8, vcc, s3, v8
	v_cvt_f32_f64_e32 v6, v[6:7]
	v_cvt_f32_f64_e32 v7, v[10:11]
	v_mov_b32_e32 v10, s2
	v_mul_f64 v[0:1], v[0:1], s[0:1]
	v_cvt_f32_f64_e32 v4, v[4:5]
	v_mul_f32_e32 v5, v80, v3
	v_addc_co_u32_e32 v9, vcc, v9, v10, vcc
	v_fmac_f32_e32 v5, v79, v2
	global_store_dwordx2 v[8:9], v[6:7], off
	v_cvt_f64_f32_e32 v[6:7], v5
	v_mul_f32_e32 v2, v80, v2
	v_fma_f32 v2, v79, v3, -v2
	v_cvt_f64_f32_e32 v[2:3], v2
	v_mul_f64 v[6:7], v[6:7], s[0:1]
	v_cvt_f32_f64_e32 v5, v[0:1]
	v_mov_b32_e32 v0, s2
	v_add_co_u32_e32 v8, vcc, s3, v8
	v_mul_f64 v[10:11], v[2:3], s[0:1]
	v_addc_co_u32_e32 v9, vcc, v9, v0, vcc
	ds_read2_b64 v[0:3], v25 offset0:48 offset1:230
	global_store_dwordx2 v[8:9], v[4:5], off
	v_cvt_f32_f64_e32 v4, v[6:7]
	v_add_co_u32_e32 v8, vcc, s3, v8
	s_waitcnt lgkmcnt(0)
	v_mul_f32_e32 v6, v75, v1
	v_fmac_f32_e32 v6, v74, v0
	v_mul_f32_e32 v0, v75, v0
	v_fma_f32 v0, v74, v1, -v0
	v_cvt_f32_f64_e32 v5, v[10:11]
	v_cvt_f64_f32_e32 v[6:7], v6
	v_cvt_f64_f32_e32 v[0:1], v0
	v_mov_b32_e32 v10, s2
	v_addc_co_u32_e32 v9, vcc, v9, v10, vcc
	global_store_dwordx2 v[8:9], v[4:5], off
	v_mul_f64 v[4:5], v[6:7], s[0:1]
	v_mul_f64 v[0:1], v[0:1], s[0:1]
	v_mul_f32_e32 v6, v73, v3
	v_fmac_f32_e32 v6, v72, v2
	v_mul_f32_e32 v2, v73, v2
	v_fma_f32 v2, v72, v3, -v2
	v_cvt_f64_f32_e32 v[6:7], v6
	v_cvt_f64_f32_e32 v[2:3], v2
	v_cvt_f32_f64_e32 v4, v[4:5]
	v_cvt_f32_f64_e32 v5, v[0:1]
	v_mul_f64 v[0:1], v[6:7], s[0:1]
	v_mul_f64 v[2:3], v[2:3], s[0:1]
	v_mov_b32_e32 v7, s2
	v_add_co_u32_e32 v6, vcc, s3, v8
	v_addc_co_u32_e32 v7, vcc, v9, v7, vcc
	global_store_dwordx2 v[6:7], v[4:5], off
	v_cvt_f32_f64_e32 v0, v[0:1]
	v_cvt_f32_f64_e32 v1, v[2:3]
	v_mov_b32_e32 v3, s2
	v_add_co_u32_e32 v2, vcc, s3, v6
	v_addc_co_u32_e32 v3, vcc, v7, v3, vcc
	global_store_dwordx2 v[2:3], v[0:1], off
.LBB0_18:
	s_endpgm
	.section	.rodata,"a",@progbits
	.p2align	6, 0x0
	.amdhsa_kernel bluestein_single_back_len1820_dim1_sp_op_CI_CI
		.amdhsa_group_segment_fixed_size 14560
		.amdhsa_private_segment_fixed_size 0
		.amdhsa_kernarg_size 104
		.amdhsa_user_sgpr_count 6
		.amdhsa_user_sgpr_private_segment_buffer 1
		.amdhsa_user_sgpr_dispatch_ptr 0
		.amdhsa_user_sgpr_queue_ptr 0
		.amdhsa_user_sgpr_kernarg_segment_ptr 1
		.amdhsa_user_sgpr_dispatch_id 0
		.amdhsa_user_sgpr_flat_scratch_init 0
		.amdhsa_user_sgpr_private_segment_size 0
		.amdhsa_uses_dynamic_stack 0
		.amdhsa_system_sgpr_private_segment_wavefront_offset 0
		.amdhsa_system_sgpr_workgroup_id_x 1
		.amdhsa_system_sgpr_workgroup_id_y 0
		.amdhsa_system_sgpr_workgroup_id_z 0
		.amdhsa_system_sgpr_workgroup_info 0
		.amdhsa_system_vgpr_workitem_id 0
		.amdhsa_next_free_vgpr 245
		.amdhsa_next_free_sgpr 20
		.amdhsa_reserve_vcc 1
		.amdhsa_reserve_flat_scratch 0
		.amdhsa_float_round_mode_32 0
		.amdhsa_float_round_mode_16_64 0
		.amdhsa_float_denorm_mode_32 3
		.amdhsa_float_denorm_mode_16_64 3
		.amdhsa_dx10_clamp 1
		.amdhsa_ieee_mode 1
		.amdhsa_fp16_overflow 0
		.amdhsa_exception_fp_ieee_invalid_op 0
		.amdhsa_exception_fp_denorm_src 0
		.amdhsa_exception_fp_ieee_div_zero 0
		.amdhsa_exception_fp_ieee_overflow 0
		.amdhsa_exception_fp_ieee_underflow 0
		.amdhsa_exception_fp_ieee_inexact 0
		.amdhsa_exception_int_div_zero 0
	.end_amdhsa_kernel
	.text
.Lfunc_end0:
	.size	bluestein_single_back_len1820_dim1_sp_op_CI_CI, .Lfunc_end0-bluestein_single_back_len1820_dim1_sp_op_CI_CI
                                        ; -- End function
	.section	.AMDGPU.csdata,"",@progbits
; Kernel info:
; codeLenInByte = 15180
; NumSgprs: 24
; NumVgprs: 245
; ScratchSize: 0
; MemoryBound: 0
; FloatMode: 240
; IeeeMode: 1
; LDSByteSize: 14560 bytes/workgroup (compile time only)
; SGPRBlocks: 2
; VGPRBlocks: 61
; NumSGPRsForWavesPerEU: 24
; NumVGPRsForWavesPerEU: 245
; Occupancy: 1
; WaveLimiterHint : 1
; COMPUTE_PGM_RSRC2:SCRATCH_EN: 0
; COMPUTE_PGM_RSRC2:USER_SGPR: 6
; COMPUTE_PGM_RSRC2:TRAP_HANDLER: 0
; COMPUTE_PGM_RSRC2:TGID_X_EN: 1
; COMPUTE_PGM_RSRC2:TGID_Y_EN: 0
; COMPUTE_PGM_RSRC2:TGID_Z_EN: 0
; COMPUTE_PGM_RSRC2:TIDIG_COMP_CNT: 0
	.type	__hip_cuid_e2b02ed61262f5a7,@object ; @__hip_cuid_e2b02ed61262f5a7
	.section	.bss,"aw",@nobits
	.globl	__hip_cuid_e2b02ed61262f5a7
__hip_cuid_e2b02ed61262f5a7:
	.byte	0                               ; 0x0
	.size	__hip_cuid_e2b02ed61262f5a7, 1

	.ident	"AMD clang version 19.0.0git (https://github.com/RadeonOpenCompute/llvm-project roc-6.4.0 25133 c7fe45cf4b819c5991fe208aaa96edf142730f1d)"
	.section	".note.GNU-stack","",@progbits
	.addrsig
	.addrsig_sym __hip_cuid_e2b02ed61262f5a7
	.amdgpu_metadata
---
amdhsa.kernels:
  - .args:
      - .actual_access:  read_only
        .address_space:  global
        .offset:         0
        .size:           8
        .value_kind:     global_buffer
      - .actual_access:  read_only
        .address_space:  global
        .offset:         8
        .size:           8
        .value_kind:     global_buffer
      - .actual_access:  read_only
        .address_space:  global
        .offset:         16
        .size:           8
        .value_kind:     global_buffer
      - .actual_access:  read_only
        .address_space:  global
        .offset:         24
        .size:           8
        .value_kind:     global_buffer
      - .actual_access:  read_only
        .address_space:  global
        .offset:         32
        .size:           8
        .value_kind:     global_buffer
      - .offset:         40
        .size:           8
        .value_kind:     by_value
      - .address_space:  global
        .offset:         48
        .size:           8
        .value_kind:     global_buffer
      - .address_space:  global
        .offset:         56
        .size:           8
        .value_kind:     global_buffer
      - .address_space:  global
        .offset:         64
        .size:           8
        .value_kind:     global_buffer
      - .address_space:  global
        .offset:         72
        .size:           8
        .value_kind:     global_buffer
      - .offset:         80
        .size:           4
        .value_kind:     by_value
      - .address_space:  global
        .offset:         88
        .size:           8
        .value_kind:     global_buffer
      - .address_space:  global
        .offset:         96
        .size:           8
        .value_kind:     global_buffer
    .group_segment_fixed_size: 14560
    .kernarg_segment_align: 8
    .kernarg_segment_size: 104
    .language:       OpenCL C
    .language_version:
      - 2
      - 0
    .max_flat_workgroup_size: 182
    .name:           bluestein_single_back_len1820_dim1_sp_op_CI_CI
    .private_segment_fixed_size: 0
    .sgpr_count:     24
    .sgpr_spill_count: 0
    .symbol:         bluestein_single_back_len1820_dim1_sp_op_CI_CI.kd
    .uniform_work_group_size: 1
    .uses_dynamic_stack: false
    .vgpr_count:     245
    .vgpr_spill_count: 0
    .wavefront_size: 64
amdhsa.target:   amdgcn-amd-amdhsa--gfx906
amdhsa.version:
  - 1
  - 2
...

	.end_amdgpu_metadata
